;; amdgpu-corpus repo=ROCm/rocSPARSE kind=compiled arch=gfx950 opt=O3
	.amdgcn_target "amdgcn-amd-amdhsa--gfx950"
	.amdhsa_code_object_version 6
	.section	.text._ZN9rocsparseL33gebsrmm_large_blockdim_kernel_extILi8ELi8ELi2EfEEv20rocsparse_direction_20rocsparse_operation_iiNS_24const_host_device_scalarIT2_EEPKiS7_PKS4_iiS9_lS5_PS4_l21rocsparse_index_base_b,"axG",@progbits,_ZN9rocsparseL33gebsrmm_large_blockdim_kernel_extILi8ELi8ELi2EfEEv20rocsparse_direction_20rocsparse_operation_iiNS_24const_host_device_scalarIT2_EEPKiS7_PKS4_iiS9_lS5_PS4_l21rocsparse_index_base_b,comdat
	.globl	_ZN9rocsparseL33gebsrmm_large_blockdim_kernel_extILi8ELi8ELi2EfEEv20rocsparse_direction_20rocsparse_operation_iiNS_24const_host_device_scalarIT2_EEPKiS7_PKS4_iiS9_lS5_PS4_l21rocsparse_index_base_b ; -- Begin function _ZN9rocsparseL33gebsrmm_large_blockdim_kernel_extILi8ELi8ELi2EfEEv20rocsparse_direction_20rocsparse_operation_iiNS_24const_host_device_scalarIT2_EEPKiS7_PKS4_iiS9_lS5_PS4_l21rocsparse_index_base_b
	.p2align	8
	.type	_ZN9rocsparseL33gebsrmm_large_blockdim_kernel_extILi8ELi8ELi2EfEEv20rocsparse_direction_20rocsparse_operation_iiNS_24const_host_device_scalarIT2_EEPKiS7_PKS4_iiS9_lS5_PS4_l21rocsparse_index_base_b,@function
_ZN9rocsparseL33gebsrmm_large_blockdim_kernel_extILi8ELi8ELi2EfEEv20rocsparse_direction_20rocsparse_operation_iiNS_24const_host_device_scalarIT2_EEPKiS7_PKS4_iiS9_lS5_PS4_l21rocsparse_index_base_b: ; @_ZN9rocsparseL33gebsrmm_large_blockdim_kernel_extILi8ELi8ELi2EfEEv20rocsparse_direction_20rocsparse_operation_iiNS_24const_host_device_scalarIT2_EEPKiS7_PKS4_iiS9_lS5_PS4_l21rocsparse_index_base_b
; %bb.0:
	s_load_dwordx2 s[26:27], s[0:1], 0x60
	s_load_dwordx2 s[24:25], s[0:1], 0x10
	s_load_dwordx4 s[16:19], s[0:1], 0x40
	s_waitcnt lgkmcnt(0)
	s_bitcmp1_b32 s27, 0
	s_cselect_b64 s[6:7], -1, 0
	s_xor_b64 s[4:5], s[6:7], -1
	s_and_b64 vcc, exec, s[6:7]
	s_cbranch_vccnz .LBB0_2
; %bb.1:
	s_load_dword s24, s[24:25], 0x0
.LBB0_2:
	s_andn2_b64 vcc, exec, s[4:5]
	s_cbranch_vccnz .LBB0_4
; %bb.3:
	s_load_dword s18, s[18:19], 0x0
.LBB0_4:
	s_waitcnt lgkmcnt(0)
	v_cmp_eq_f32_e64 s[4:5], s24, 0
	v_cmp_eq_f32_e64 s[6:7], s18, 1.0
	s_and_b64 s[4:5], s[4:5], s[6:7]
	s_mov_b32 s34, 0
	s_and_b64 vcc, exec, s[4:5]
	s_cbranch_vccnz .LBB0_45
; %bb.5:
	s_load_dwordx4 s[12:15], s[0:1], 0x0
	s_mov_b32 s19, 0
	s_waitcnt lgkmcnt(0)
	s_cmp_lt_i32 s2, s14
	s_cselect_b64 s[28:29], -1, 0
	s_cmp_ge_i32 s2, s14
	s_cbranch_scc1 .LBB0_7
; %bb.6:
	s_load_dwordx2 s[6:7], s[0:1], 0x18
	s_mov_b32 s4, s3
	s_ashr_i32 s3, s2, 31
	s_lshl_b64 s[8:9], s[2:3], 2
	s_mov_b32 s3, s4
	s_waitcnt lgkmcnt(0)
	s_add_u32 s4, s6, s8
	s_addc_u32 s5, s7, s9
	s_load_dwordx2 s[6:7], s[4:5], 0x0
	s_waitcnt lgkmcnt(0)
	s_sub_i32 s34, s6, s26
	s_sub_i32 s19, s7, s26
.LBB0_7:
	s_load_dwordx2 s[30:31], s[0:1], 0x50
	s_load_dwordx2 s[36:37], s[0:1], 0x30
	v_bfe_u32 v6, v0, 10, 10
	v_lshl_add_u32 v4, s3, 4, v6
	v_add_u32_e32 v2, 8, v4
	v_and_b32_e32 v0, 0x3ff, v0
	v_cmp_gt_i32_e64 s[6:7], s15, v4
	v_cmp_gt_i32_e64 s[4:5], s15, v2
	s_cmp_ge_i32 s34, s19
	s_waitcnt lgkmcnt(0)
	v_cmp_gt_i32_e64 s[8:9], s36, v0
	s_cbranch_scc1 .LBB0_35
; %bb.8:
	v_cmp_gt_i32_e32 vcc, s37, v6
	s_and_b64 s[38:39], s[8:9], vcc
	s_load_dwordx4 s[20:23], s[0:1], 0x20
	s_load_dwordx2 s[14:15], s[0:1], 0x38
	v_mov_b32_e32 v1, 0x200
	s_cmpk_lg_i32 s13, 0x6f
	v_lshlrev_b32_e32 v7, 5, v6
	v_ashrrev_i32_e32 v5, 31, v4
	v_lshl_add_u32 v16, v6, 2, v1
	s_cselect_b64 s[44:45], -1, 0
	s_cmp_eq_u32 s12, 0
	v_mad_u64_u32 v[12:13], s[12:13], s36, v6, v[0:1]
	v_mad_u64_u32 v[14:15], s[12:13], s37, v0, v[6:7]
	v_ashrrev_i32_e32 v3, 31, v2
	v_mul_lo_u32 v1, s17, v4
	v_mul_lo_u32 v6, s16, v5
	v_mad_u64_u32 v[8:9], s[40:41], s16, v4, 0
	s_cselect_b64 vcc, -1, 0
	s_cmp_gt_i32 s37, 0
	v_add3_u32 v9, v9, v6, v1
	v_mul_lo_u32 v1, s17, v2
	v_mul_lo_u32 v6, s16, v3
	v_mad_u64_u32 v[10:11], s[40:41], s16, v2, 0
	v_lshlrev_b32_e32 v17, 2, v0
	v_lshlrev_b32_e32 v13, 5, v0
	s_cselect_b64 s[12:13], -1, 0
	v_add3_u32 v11, v11, v6, v1
	v_cndmask_b32_e32 v18, v12, v14, vcc
	v_mov_b32_e32 v6, 0
	v_cndmask_b32_e64 v12, 0, 1, s[44:45]
	s_mul_i32 s3, s37, s36
	v_cmp_gt_i32_e64 s[10:11], s37, v0
	s_and_b64 s[40:41], s[6:7], s[12:13]
	s_and_b64 s[42:43], s[4:5], s[12:13]
	v_add_u32_e32 v19, 0x200, v13
	v_add_u32_e32 v20, 0x100, v7
	v_mov_b32_e32 v1, v6
	v_cmp_ne_u32_e64 s[12:13], 1, v12
	v_add_u32_e32 v21, v17, v7
	v_add_u32_e32 v22, v16, v13
	s_branch .LBB0_11
.LBB0_9:                                ;   in Loop: Header=BB0_11 Depth=1
	s_or_b64 exec, exec, s[46:47]
.LBB0_10:                               ;   in Loop: Header=BB0_11 Depth=1
	s_or_b64 exec, exec, s[44:45]
	s_add_i32 s34, s34, 1
	s_cmp_ge_i32 s34, s19
	; wave barrier
	s_cbranch_scc1 .LBB0_36
.LBB0_11:                               ; =>This Loop Header: Depth=1
                                        ;     Child Loop BB0_31 Depth 2
                                        ;     Child Loop BB0_34 Depth 2
	s_and_saveexec_b64 s[44:45], s[10:11]
	s_cbranch_execz .LBB0_26
; %bb.12:                               ;   in Loop: Header=BB0_11 Depth=1
	s_ashr_i32 s35, s34, 31
	s_lshl_b64 s[46:47], s[34:35], 2
	s_waitcnt lgkmcnt(0)
	s_add_u32 s46, s20, s46
	s_addc_u32 s47, s21, s47
	s_load_dword s25, s[46:47], 0x0
	s_and_b64 vcc, exec, s[12:13]
	s_waitcnt lgkmcnt(0)
	s_sub_i32 s25, s25, s26
	s_mul_i32 s25, s25, s37
	v_add_u32_e32 v12, s25, v0
	v_ashrrev_i32_e32 v13, 31, v12
	s_cbranch_vccnz .LBB0_18
; %bb.13:                               ;   in Loop: Header=BB0_11 Depth=1
	v_mul_lo_u32 v16, s17, v12
	v_mul_lo_u32 v17, s16, v13
	v_mad_u64_u32 v[14:15], s[46:47], s16, v12, 0
	v_add3_u32 v15, v15, v17, v16
	v_lshl_add_u64 v[16:17], v[14:15], 2, s[14:15]
	s_and_saveexec_b64 s[46:47], s[6:7]
	s_cbranch_execz .LBB0_15
; %bb.14:                               ;   in Loop: Header=BB0_11 Depth=1
	v_lshl_add_u64 v[14:15], v[4:5], 2, v[16:17]
	global_load_dword v14, v[14:15], off
	s_waitcnt vmcnt(0)
	ds_write_b32 v21, v14
.LBB0_15:                               ;   in Loop: Header=BB0_11 Depth=1
	s_or_b64 exec, exec, s[46:47]
	s_mov_b64 s[48:49], 0
	s_mov_b64 s[46:47], 0
                                        ; implicit-def: $vgpr14_vgpr15
	s_and_saveexec_b64 s[50:51], s[4:5]
	s_xor_b64 s[50:51], exec, s[50:51]
; %bb.16:                               ;   in Loop: Header=BB0_11 Depth=1
	s_mov_b64 s[46:47], exec
	v_lshl_add_u64 v[14:15], v[2:3], 2, v[16:17]
; %bb.17:                               ;   in Loop: Header=BB0_11 Depth=1
	s_or_b64 exec, exec, s[50:51]
	s_and_b64 vcc, exec, s[48:49]
	s_cbranch_vccnz .LBB0_19
	s_branch .LBB0_24
.LBB0_18:                               ;   in Loop: Header=BB0_11 Depth=1
	s_mov_b64 s[46:47], 0
                                        ; implicit-def: $vgpr14_vgpr15
	s_cbranch_execz .LBB0_24
.LBB0_19:                               ;   in Loop: Header=BB0_11 Depth=1
	v_lshl_add_u64 v[12:13], v[12:13], 2, s[14:15]
	s_and_saveexec_b64 s[48:49], s[6:7]
	s_cbranch_execz .LBB0_21
; %bb.20:                               ;   in Loop: Header=BB0_11 Depth=1
	v_lshl_add_u64 v[14:15], v[8:9], 2, v[12:13]
	global_load_dword v14, v[14:15], off
	s_waitcnt vmcnt(0)
	ds_write_b32 v21, v14
.LBB0_21:                               ;   in Loop: Header=BB0_11 Depth=1
	s_or_b64 exec, exec, s[48:49]
                                        ; implicit-def: $vgpr14_vgpr15
	s_and_saveexec_b64 s[48:49], s[4:5]
; %bb.22:                               ;   in Loop: Header=BB0_11 Depth=1
	v_lshl_add_u64 v[14:15], v[10:11], 2, v[12:13]
	s_or_b64 s[46:47], s[46:47], exec
; %bb.23:                               ;   in Loop: Header=BB0_11 Depth=1
	s_or_b64 exec, exec, s[48:49]
.LBB0_24:                               ;   in Loop: Header=BB0_11 Depth=1
	s_and_b64 exec, exec, s[46:47]
	s_cbranch_execz .LBB0_26
; %bb.25:                               ;   in Loop: Header=BB0_11 Depth=1
	global_load_dword v12, v[14:15], off
	s_waitcnt vmcnt(0)
	ds_write_b32 v21, v12 offset:256
.LBB0_26:                               ;   in Loop: Header=BB0_11 Depth=1
	s_or_b64 exec, exec, s[44:45]
	s_and_saveexec_b64 s[44:45], s[38:39]
	s_cbranch_execz .LBB0_28
; %bb.27:                               ;   in Loop: Header=BB0_11 Depth=1
	s_mul_i32 s25, s3, s34
	v_add_u32_e32 v12, s25, v18
	v_ashrrev_i32_e32 v13, 31, v12
	s_waitcnt lgkmcnt(0)
	v_lshl_add_u64 v[12:13], v[12:13], 2, s[22:23]
	global_load_dword v12, v[12:13], off
	s_waitcnt vmcnt(0)
	ds_write_b32 v22, v12
.LBB0_28:                               ;   in Loop: Header=BB0_11 Depth=1
	s_or_b64 exec, exec, s[44:45]
	s_waitcnt lgkmcnt(0)
	; wave barrier
	s_and_saveexec_b64 s[44:45], s[8:9]
	s_cbranch_execz .LBB0_10
; %bb.29:                               ;   in Loop: Header=BB0_11 Depth=1
	s_and_saveexec_b64 s[46:47], s[40:41]
	s_cbranch_execz .LBB0_32
; %bb.30:                               ;   in Loop: Header=BB0_11 Depth=1
	v_mov_b32_e32 v12, v19
	v_mov_b32_e32 v13, v7
	s_mov_b32 s25, s37
.LBB0_31:                               ;   Parent Loop BB0_11 Depth=1
                                        ; =>  This Inner Loop Header: Depth=2
	ds_read_b32 v14, v12
	ds_read_b32 v15, v13
	s_add_i32 s25, s25, -1
	v_add_u32_e32 v13, 4, v13
	v_add_u32_e32 v12, 4, v12
	s_cmp_lg_u32 s25, 0
	s_waitcnt lgkmcnt(0)
	v_fma_f32 v6, v14, v15, v6
	s_cbranch_scc1 .LBB0_31
.LBB0_32:                               ;   in Loop: Header=BB0_11 Depth=1
	s_or_b64 exec, exec, s[46:47]
	s_and_saveexec_b64 s[46:47], s[42:43]
	s_cbranch_execz .LBB0_9
; %bb.33:                               ;   in Loop: Header=BB0_11 Depth=1
	v_mov_b32_e32 v12, v19
	s_mov_b32 s25, s37
	v_mov_b32_e32 v13, v20
.LBB0_34:                               ;   Parent Loop BB0_11 Depth=1
                                        ; =>  This Inner Loop Header: Depth=2
	ds_read_b32 v14, v12
	ds_read_b32 v15, v13
	s_add_i32 s25, s25, -1
	v_add_u32_e32 v13, 4, v13
	v_add_u32_e32 v12, 4, v12
	s_cmp_lg_u32 s25, 0
	s_waitcnt lgkmcnt(0)
	v_fma_f32 v1, v14, v15, v1
	s_cbranch_scc1 .LBB0_34
	s_branch .LBB0_9
.LBB0_35:
	v_mov_b32_e32 v6, 0
	v_mov_b32_e32 v1, v6
.LBB0_36:
	s_and_b64 s[8:9], s[28:29], s[8:9]
	s_and_saveexec_b64 s[10:11], s[8:9]
	s_cbranch_execz .LBB0_45
; %bb.37:
	s_load_dwordx2 s[0:1], s[0:1], 0x58
	s_mul_i32 s2, s36, s2
	v_add_u32_e32 v8, s2, v0
	v_ashrrev_i32_e32 v9, 31, v8
	v_cmp_neq_f32_e64 s[2:3], s18, 0
	v_lshl_add_u64 v[8:9], v[8:9], 2, s[30:31]
	s_and_saveexec_b64 s[8:9], s[6:7]
	s_cbranch_execz .LBB0_41
; %bb.38:
	v_ashrrev_i32_e32 v0, 31, v4
	s_and_b64 vcc, exec, s[2:3]
	s_waitcnt lgkmcnt(0)
	v_mul_lo_u32 v3, s1, v4
	v_mul_lo_u32 v5, s0, v0
	v_mul_f32_e32 v0, s24, v6
	s_cbranch_vccz .LBB0_46
; %bb.39:
	v_mad_u64_u32 v[6:7], s[6:7], s0, v4, 0
	v_add3_u32 v7, v7, v5, v3
	v_lshl_add_u64 v[6:7], v[6:7], 2, v[8:9]
	global_load_dword v10, v[6:7], off
	s_waitcnt vmcnt(0)
	v_fma_f32 v10, s18, v10, v0
	global_store_dword v[6:7], v10, off
	s_cbranch_execnz .LBB0_41
.LBB0_40:
	v_mad_u64_u32 v[6:7], s[6:7], s0, v4, 0
	v_add3_u32 v7, v7, v5, v3
	v_lshl_add_u64 v[4:5], v[6:7], 2, v[8:9]
	global_store_dword v[4:5], v0, off
.LBB0_41:
	s_or_b64 exec, exec, s[8:9]
	s_and_b64 exec, exec, s[4:5]
	s_cbranch_execz .LBB0_45
; %bb.42:
	v_ashrrev_i32_e32 v0, 31, v2
	s_andn2_b64 vcc, exec, s[2:3]
	s_waitcnt lgkmcnt(0)
	v_mul_lo_u32 v3, s1, v2
	v_mul_lo_u32 v4, s0, v0
	v_mul_f32_e32 v0, s24, v1
	s_cbranch_vccnz .LBB0_47
; %bb.43:
	v_mad_u64_u32 v[6:7], s[2:3], s0, v2, 0
	v_add3_u32 v7, v7, v4, v3
	v_lshl_add_u64 v[6:7], v[6:7], 2, v[8:9]
	global_load_dword v1, v[6:7], off
	s_waitcnt vmcnt(0)
	v_fma_f32 v1, s18, v1, v0
	global_store_dword v[6:7], v1, off
	s_cbranch_execnz .LBB0_45
.LBB0_44:
	v_mad_u64_u32 v[6:7], s[0:1], s0, v2, 0
	v_add3_u32 v7, v7, v4, v3
	v_lshl_add_u64 v[2:3], v[6:7], 2, v[8:9]
	global_store_dword v[2:3], v0, off
.LBB0_45:
	s_endpgm
.LBB0_46:
	s_branch .LBB0_40
.LBB0_47:
	s_branch .LBB0_44
	.section	.rodata,"a",@progbits
	.p2align	6, 0x0
	.amdhsa_kernel _ZN9rocsparseL33gebsrmm_large_blockdim_kernel_extILi8ELi8ELi2EfEEv20rocsparse_direction_20rocsparse_operation_iiNS_24const_host_device_scalarIT2_EEPKiS7_PKS4_iiS9_lS5_PS4_l21rocsparse_index_base_b
		.amdhsa_group_segment_fixed_size 768
		.amdhsa_private_segment_fixed_size 0
		.amdhsa_kernarg_size 104
		.amdhsa_user_sgpr_count 2
		.amdhsa_user_sgpr_dispatch_ptr 0
		.amdhsa_user_sgpr_queue_ptr 0
		.amdhsa_user_sgpr_kernarg_segment_ptr 1
		.amdhsa_user_sgpr_dispatch_id 0
		.amdhsa_user_sgpr_kernarg_preload_length 0
		.amdhsa_user_sgpr_kernarg_preload_offset 0
		.amdhsa_user_sgpr_private_segment_size 0
		.amdhsa_uses_dynamic_stack 0
		.amdhsa_enable_private_segment 0
		.amdhsa_system_sgpr_workgroup_id_x 1
		.amdhsa_system_sgpr_workgroup_id_y 1
		.amdhsa_system_sgpr_workgroup_id_z 0
		.amdhsa_system_sgpr_workgroup_info 0
		.amdhsa_system_vgpr_workitem_id 1
		.amdhsa_next_free_vgpr 23
		.amdhsa_next_free_sgpr 52
		.amdhsa_accum_offset 24
		.amdhsa_reserve_vcc 1
		.amdhsa_float_round_mode_32 0
		.amdhsa_float_round_mode_16_64 0
		.amdhsa_float_denorm_mode_32 3
		.amdhsa_float_denorm_mode_16_64 3
		.amdhsa_dx10_clamp 1
		.amdhsa_ieee_mode 1
		.amdhsa_fp16_overflow 0
		.amdhsa_tg_split 0
		.amdhsa_exception_fp_ieee_invalid_op 0
		.amdhsa_exception_fp_denorm_src 0
		.amdhsa_exception_fp_ieee_div_zero 0
		.amdhsa_exception_fp_ieee_overflow 0
		.amdhsa_exception_fp_ieee_underflow 0
		.amdhsa_exception_fp_ieee_inexact 0
		.amdhsa_exception_int_div_zero 0
	.end_amdhsa_kernel
	.section	.text._ZN9rocsparseL33gebsrmm_large_blockdim_kernel_extILi8ELi8ELi2EfEEv20rocsparse_direction_20rocsparse_operation_iiNS_24const_host_device_scalarIT2_EEPKiS7_PKS4_iiS9_lS5_PS4_l21rocsparse_index_base_b,"axG",@progbits,_ZN9rocsparseL33gebsrmm_large_blockdim_kernel_extILi8ELi8ELi2EfEEv20rocsparse_direction_20rocsparse_operation_iiNS_24const_host_device_scalarIT2_EEPKiS7_PKS4_iiS9_lS5_PS4_l21rocsparse_index_base_b,comdat
.Lfunc_end0:
	.size	_ZN9rocsparseL33gebsrmm_large_blockdim_kernel_extILi8ELi8ELi2EfEEv20rocsparse_direction_20rocsparse_operation_iiNS_24const_host_device_scalarIT2_EEPKiS7_PKS4_iiS9_lS5_PS4_l21rocsparse_index_base_b, .Lfunc_end0-_ZN9rocsparseL33gebsrmm_large_blockdim_kernel_extILi8ELi8ELi2EfEEv20rocsparse_direction_20rocsparse_operation_iiNS_24const_host_device_scalarIT2_EEPKiS7_PKS4_iiS9_lS5_PS4_l21rocsparse_index_base_b
                                        ; -- End function
	.set _ZN9rocsparseL33gebsrmm_large_blockdim_kernel_extILi8ELi8ELi2EfEEv20rocsparse_direction_20rocsparse_operation_iiNS_24const_host_device_scalarIT2_EEPKiS7_PKS4_iiS9_lS5_PS4_l21rocsparse_index_base_b.num_vgpr, 23
	.set _ZN9rocsparseL33gebsrmm_large_blockdim_kernel_extILi8ELi8ELi2EfEEv20rocsparse_direction_20rocsparse_operation_iiNS_24const_host_device_scalarIT2_EEPKiS7_PKS4_iiS9_lS5_PS4_l21rocsparse_index_base_b.num_agpr, 0
	.set _ZN9rocsparseL33gebsrmm_large_blockdim_kernel_extILi8ELi8ELi2EfEEv20rocsparse_direction_20rocsparse_operation_iiNS_24const_host_device_scalarIT2_EEPKiS7_PKS4_iiS9_lS5_PS4_l21rocsparse_index_base_b.numbered_sgpr, 52
	.set _ZN9rocsparseL33gebsrmm_large_blockdim_kernel_extILi8ELi8ELi2EfEEv20rocsparse_direction_20rocsparse_operation_iiNS_24const_host_device_scalarIT2_EEPKiS7_PKS4_iiS9_lS5_PS4_l21rocsparse_index_base_b.num_named_barrier, 0
	.set _ZN9rocsparseL33gebsrmm_large_blockdim_kernel_extILi8ELi8ELi2EfEEv20rocsparse_direction_20rocsparse_operation_iiNS_24const_host_device_scalarIT2_EEPKiS7_PKS4_iiS9_lS5_PS4_l21rocsparse_index_base_b.private_seg_size, 0
	.set _ZN9rocsparseL33gebsrmm_large_blockdim_kernel_extILi8ELi8ELi2EfEEv20rocsparse_direction_20rocsparse_operation_iiNS_24const_host_device_scalarIT2_EEPKiS7_PKS4_iiS9_lS5_PS4_l21rocsparse_index_base_b.uses_vcc, 1
	.set _ZN9rocsparseL33gebsrmm_large_blockdim_kernel_extILi8ELi8ELi2EfEEv20rocsparse_direction_20rocsparse_operation_iiNS_24const_host_device_scalarIT2_EEPKiS7_PKS4_iiS9_lS5_PS4_l21rocsparse_index_base_b.uses_flat_scratch, 0
	.set _ZN9rocsparseL33gebsrmm_large_blockdim_kernel_extILi8ELi8ELi2EfEEv20rocsparse_direction_20rocsparse_operation_iiNS_24const_host_device_scalarIT2_EEPKiS7_PKS4_iiS9_lS5_PS4_l21rocsparse_index_base_b.has_dyn_sized_stack, 0
	.set _ZN9rocsparseL33gebsrmm_large_blockdim_kernel_extILi8ELi8ELi2EfEEv20rocsparse_direction_20rocsparse_operation_iiNS_24const_host_device_scalarIT2_EEPKiS7_PKS4_iiS9_lS5_PS4_l21rocsparse_index_base_b.has_recursion, 0
	.set _ZN9rocsparseL33gebsrmm_large_blockdim_kernel_extILi8ELi8ELi2EfEEv20rocsparse_direction_20rocsparse_operation_iiNS_24const_host_device_scalarIT2_EEPKiS7_PKS4_iiS9_lS5_PS4_l21rocsparse_index_base_b.has_indirect_call, 0
	.section	.AMDGPU.csdata,"",@progbits
; Kernel info:
; codeLenInByte = 1380
; TotalNumSgprs: 58
; NumVgprs: 23
; NumAgprs: 0
; TotalNumVgprs: 23
; ScratchSize: 0
; MemoryBound: 0
; FloatMode: 240
; IeeeMode: 1
; LDSByteSize: 768 bytes/workgroup (compile time only)
; SGPRBlocks: 7
; VGPRBlocks: 2
; NumSGPRsForWavesPerEU: 58
; NumVGPRsForWavesPerEU: 23
; AccumOffset: 24
; Occupancy: 8
; WaveLimiterHint : 1
; COMPUTE_PGM_RSRC2:SCRATCH_EN: 0
; COMPUTE_PGM_RSRC2:USER_SGPR: 2
; COMPUTE_PGM_RSRC2:TRAP_HANDLER: 0
; COMPUTE_PGM_RSRC2:TGID_X_EN: 1
; COMPUTE_PGM_RSRC2:TGID_Y_EN: 1
; COMPUTE_PGM_RSRC2:TGID_Z_EN: 0
; COMPUTE_PGM_RSRC2:TIDIG_COMP_CNT: 1
; COMPUTE_PGM_RSRC3_GFX90A:ACCUM_OFFSET: 5
; COMPUTE_PGM_RSRC3_GFX90A:TG_SPLIT: 0
	.section	.text._ZN9rocsparseL33gebsrmm_large_blockdim_kernel_extILi16ELi16ELi2EfEEv20rocsparse_direction_20rocsparse_operation_iiNS_24const_host_device_scalarIT2_EEPKiS7_PKS4_iiS9_lS5_PS4_l21rocsparse_index_base_b,"axG",@progbits,_ZN9rocsparseL33gebsrmm_large_blockdim_kernel_extILi16ELi16ELi2EfEEv20rocsparse_direction_20rocsparse_operation_iiNS_24const_host_device_scalarIT2_EEPKiS7_PKS4_iiS9_lS5_PS4_l21rocsparse_index_base_b,comdat
	.globl	_ZN9rocsparseL33gebsrmm_large_blockdim_kernel_extILi16ELi16ELi2EfEEv20rocsparse_direction_20rocsparse_operation_iiNS_24const_host_device_scalarIT2_EEPKiS7_PKS4_iiS9_lS5_PS4_l21rocsparse_index_base_b ; -- Begin function _ZN9rocsparseL33gebsrmm_large_blockdim_kernel_extILi16ELi16ELi2EfEEv20rocsparse_direction_20rocsparse_operation_iiNS_24const_host_device_scalarIT2_EEPKiS7_PKS4_iiS9_lS5_PS4_l21rocsparse_index_base_b
	.p2align	8
	.type	_ZN9rocsparseL33gebsrmm_large_blockdim_kernel_extILi16ELi16ELi2EfEEv20rocsparse_direction_20rocsparse_operation_iiNS_24const_host_device_scalarIT2_EEPKiS7_PKS4_iiS9_lS5_PS4_l21rocsparse_index_base_b,@function
_ZN9rocsparseL33gebsrmm_large_blockdim_kernel_extILi16ELi16ELi2EfEEv20rocsparse_direction_20rocsparse_operation_iiNS_24const_host_device_scalarIT2_EEPKiS7_PKS4_iiS9_lS5_PS4_l21rocsparse_index_base_b: ; @_ZN9rocsparseL33gebsrmm_large_blockdim_kernel_extILi16ELi16ELi2EfEEv20rocsparse_direction_20rocsparse_operation_iiNS_24const_host_device_scalarIT2_EEPKiS7_PKS4_iiS9_lS5_PS4_l21rocsparse_index_base_b
; %bb.0:
	s_load_dwordx2 s[26:27], s[0:1], 0x60
	s_load_dwordx2 s[24:25], s[0:1], 0x10
	s_load_dwordx4 s[16:19], s[0:1], 0x40
	s_waitcnt lgkmcnt(0)
	s_bitcmp1_b32 s27, 0
	s_cselect_b64 s[6:7], -1, 0
	s_xor_b64 s[4:5], s[6:7], -1
	s_and_b64 vcc, exec, s[6:7]
	s_cbranch_vccnz .LBB1_2
; %bb.1:
	s_load_dword s24, s[24:25], 0x0
.LBB1_2:
	s_andn2_b64 vcc, exec, s[4:5]
	s_cbranch_vccnz .LBB1_4
; %bb.3:
	s_load_dword s18, s[18:19], 0x0
.LBB1_4:
	s_waitcnt lgkmcnt(0)
	v_cmp_eq_f32_e64 s[4:5], s24, 0
	v_cmp_eq_f32_e64 s[6:7], s18, 1.0
	s_and_b64 s[4:5], s[4:5], s[6:7]
	s_mov_b32 s34, 0
	s_and_b64 vcc, exec, s[4:5]
	s_cbranch_vccnz .LBB1_45
; %bb.5:
	s_load_dwordx4 s[12:15], s[0:1], 0x0
	s_mov_b32 s19, 0
	s_waitcnt lgkmcnt(0)
	s_cmp_lt_i32 s2, s14
	s_cselect_b64 s[28:29], -1, 0
	s_cmp_ge_i32 s2, s14
	s_cbranch_scc1 .LBB1_7
; %bb.6:
	s_load_dwordx2 s[6:7], s[0:1], 0x18
	s_mov_b32 s4, s3
	s_ashr_i32 s3, s2, 31
	s_lshl_b64 s[8:9], s[2:3], 2
	s_mov_b32 s3, s4
	s_waitcnt lgkmcnt(0)
	s_add_u32 s4, s6, s8
	s_addc_u32 s5, s7, s9
	s_load_dwordx2 s[6:7], s[4:5], 0x0
	s_waitcnt lgkmcnt(0)
	s_sub_i32 s34, s6, s26
	s_sub_i32 s19, s7, s26
.LBB1_7:
	s_load_dwordx2 s[30:31], s[0:1], 0x50
	s_load_dwordx2 s[36:37], s[0:1], 0x30
	v_bfe_u32 v6, v0, 10, 10
	v_lshl_add_u32 v4, s3, 5, v6
	v_add_u32_e32 v2, 16, v4
	v_and_b32_e32 v0, 0x3ff, v0
	v_cmp_gt_i32_e64 s[6:7], s15, v4
	v_cmp_gt_i32_e64 s[4:5], s15, v2
	s_cmp_ge_i32 s34, s19
	s_waitcnt lgkmcnt(0)
	v_cmp_gt_i32_e64 s[8:9], s36, v0
	s_cbranch_scc1 .LBB1_35
; %bb.8:
	v_cmp_gt_i32_e32 vcc, s37, v6
	s_and_b64 s[38:39], s[8:9], vcc
	s_load_dwordx4 s[20:23], s[0:1], 0x20
	s_load_dwordx2 s[14:15], s[0:1], 0x38
	v_mov_b32_e32 v1, 0x800
	s_cmpk_lg_i32 s13, 0x6f
	v_lshlrev_b32_e32 v7, 6, v6
	v_ashrrev_i32_e32 v5, 31, v4
	v_lshl_add_u32 v16, v6, 2, v1
	s_cselect_b64 s[44:45], -1, 0
	s_cmp_eq_u32 s12, 0
	v_mad_u64_u32 v[12:13], s[12:13], s36, v6, v[0:1]
	v_mad_u64_u32 v[14:15], s[12:13], s37, v0, v[6:7]
	v_ashrrev_i32_e32 v3, 31, v2
	v_mul_lo_u32 v1, s17, v4
	v_mul_lo_u32 v6, s16, v5
	v_mad_u64_u32 v[8:9], s[40:41], s16, v4, 0
	s_cselect_b64 vcc, -1, 0
	s_cmp_gt_i32 s37, 0
	v_add3_u32 v9, v9, v6, v1
	v_mul_lo_u32 v1, s17, v2
	v_mul_lo_u32 v6, s16, v3
	v_mad_u64_u32 v[10:11], s[40:41], s16, v2, 0
	v_lshlrev_b32_e32 v17, 2, v0
	v_lshlrev_b32_e32 v13, 6, v0
	s_cselect_b64 s[12:13], -1, 0
	v_add3_u32 v11, v11, v6, v1
	v_cndmask_b32_e32 v18, v12, v14, vcc
	v_mov_b32_e32 v6, 0
	v_cndmask_b32_e64 v12, 0, 1, s[44:45]
	s_mul_i32 s3, s37, s36
	v_cmp_gt_i32_e64 s[10:11], s37, v0
	s_and_b64 s[40:41], s[6:7], s[12:13]
	s_and_b64 s[42:43], s[4:5], s[12:13]
	v_add_u32_e32 v19, 0x800, v13
	v_add_u32_e32 v20, 0x400, v7
	v_mov_b32_e32 v1, v6
	v_cmp_ne_u32_e64 s[12:13], 1, v12
	v_add_u32_e32 v21, v17, v7
	v_add_u32_e32 v22, v16, v13
	s_branch .LBB1_11
.LBB1_9:                                ;   in Loop: Header=BB1_11 Depth=1
	s_or_b64 exec, exec, s[46:47]
.LBB1_10:                               ;   in Loop: Header=BB1_11 Depth=1
	s_or_b64 exec, exec, s[44:45]
	s_add_i32 s34, s34, 1
	s_cmp_ge_i32 s34, s19
	s_barrier
	s_cbranch_scc1 .LBB1_36
.LBB1_11:                               ; =>This Loop Header: Depth=1
                                        ;     Child Loop BB1_31 Depth 2
                                        ;     Child Loop BB1_34 Depth 2
	s_and_saveexec_b64 s[44:45], s[10:11]
	s_cbranch_execz .LBB1_26
; %bb.12:                               ;   in Loop: Header=BB1_11 Depth=1
	s_ashr_i32 s35, s34, 31
	s_lshl_b64 s[46:47], s[34:35], 2
	s_waitcnt lgkmcnt(0)
	s_add_u32 s46, s20, s46
	s_addc_u32 s47, s21, s47
	s_load_dword s25, s[46:47], 0x0
	s_and_b64 vcc, exec, s[12:13]
	s_waitcnt lgkmcnt(0)
	s_sub_i32 s25, s25, s26
	s_mul_i32 s25, s25, s37
	v_add_u32_e32 v12, s25, v0
	v_ashrrev_i32_e32 v13, 31, v12
	s_cbranch_vccnz .LBB1_18
; %bb.13:                               ;   in Loop: Header=BB1_11 Depth=1
	v_mul_lo_u32 v16, s17, v12
	v_mul_lo_u32 v17, s16, v13
	v_mad_u64_u32 v[14:15], s[46:47], s16, v12, 0
	v_add3_u32 v15, v15, v17, v16
	v_lshl_add_u64 v[16:17], v[14:15], 2, s[14:15]
	s_and_saveexec_b64 s[46:47], s[6:7]
	s_cbranch_execz .LBB1_15
; %bb.14:                               ;   in Loop: Header=BB1_11 Depth=1
	v_lshl_add_u64 v[14:15], v[4:5], 2, v[16:17]
	global_load_dword v14, v[14:15], off
	s_waitcnt vmcnt(0)
	ds_write_b32 v21, v14
.LBB1_15:                               ;   in Loop: Header=BB1_11 Depth=1
	s_or_b64 exec, exec, s[46:47]
	s_mov_b64 s[48:49], 0
	s_mov_b64 s[46:47], 0
                                        ; implicit-def: $vgpr14_vgpr15
	s_and_saveexec_b64 s[50:51], s[4:5]
	s_xor_b64 s[50:51], exec, s[50:51]
; %bb.16:                               ;   in Loop: Header=BB1_11 Depth=1
	s_mov_b64 s[46:47], exec
	v_lshl_add_u64 v[14:15], v[2:3], 2, v[16:17]
; %bb.17:                               ;   in Loop: Header=BB1_11 Depth=1
	s_or_b64 exec, exec, s[50:51]
	s_and_b64 vcc, exec, s[48:49]
	s_cbranch_vccnz .LBB1_19
	s_branch .LBB1_24
.LBB1_18:                               ;   in Loop: Header=BB1_11 Depth=1
	s_mov_b64 s[46:47], 0
                                        ; implicit-def: $vgpr14_vgpr15
	s_cbranch_execz .LBB1_24
.LBB1_19:                               ;   in Loop: Header=BB1_11 Depth=1
	v_lshl_add_u64 v[12:13], v[12:13], 2, s[14:15]
	s_and_saveexec_b64 s[48:49], s[6:7]
	s_cbranch_execz .LBB1_21
; %bb.20:                               ;   in Loop: Header=BB1_11 Depth=1
	v_lshl_add_u64 v[14:15], v[8:9], 2, v[12:13]
	global_load_dword v14, v[14:15], off
	s_waitcnt vmcnt(0)
	ds_write_b32 v21, v14
.LBB1_21:                               ;   in Loop: Header=BB1_11 Depth=1
	s_or_b64 exec, exec, s[48:49]
                                        ; implicit-def: $vgpr14_vgpr15
	s_and_saveexec_b64 s[48:49], s[4:5]
; %bb.22:                               ;   in Loop: Header=BB1_11 Depth=1
	v_lshl_add_u64 v[14:15], v[10:11], 2, v[12:13]
	s_or_b64 s[46:47], s[46:47], exec
; %bb.23:                               ;   in Loop: Header=BB1_11 Depth=1
	s_or_b64 exec, exec, s[48:49]
.LBB1_24:                               ;   in Loop: Header=BB1_11 Depth=1
	s_and_b64 exec, exec, s[46:47]
	s_cbranch_execz .LBB1_26
; %bb.25:                               ;   in Loop: Header=BB1_11 Depth=1
	global_load_dword v12, v[14:15], off
	s_waitcnt vmcnt(0)
	ds_write_b32 v21, v12 offset:1024
.LBB1_26:                               ;   in Loop: Header=BB1_11 Depth=1
	s_or_b64 exec, exec, s[44:45]
	s_and_saveexec_b64 s[44:45], s[38:39]
	s_cbranch_execz .LBB1_28
; %bb.27:                               ;   in Loop: Header=BB1_11 Depth=1
	s_mul_i32 s25, s3, s34
	v_add_u32_e32 v12, s25, v18
	v_ashrrev_i32_e32 v13, 31, v12
	s_waitcnt lgkmcnt(0)
	v_lshl_add_u64 v[12:13], v[12:13], 2, s[22:23]
	global_load_dword v12, v[12:13], off
	s_waitcnt vmcnt(0)
	ds_write_b32 v22, v12
.LBB1_28:                               ;   in Loop: Header=BB1_11 Depth=1
	s_or_b64 exec, exec, s[44:45]
	s_waitcnt lgkmcnt(0)
	s_barrier
	s_and_saveexec_b64 s[44:45], s[8:9]
	s_cbranch_execz .LBB1_10
; %bb.29:                               ;   in Loop: Header=BB1_11 Depth=1
	s_and_saveexec_b64 s[46:47], s[40:41]
	s_cbranch_execz .LBB1_32
; %bb.30:                               ;   in Loop: Header=BB1_11 Depth=1
	v_mov_b32_e32 v12, v19
	v_mov_b32_e32 v13, v7
	s_mov_b32 s25, s37
.LBB1_31:                               ;   Parent Loop BB1_11 Depth=1
                                        ; =>  This Inner Loop Header: Depth=2
	ds_read_b32 v14, v12
	ds_read_b32 v15, v13
	s_add_i32 s25, s25, -1
	v_add_u32_e32 v13, 4, v13
	v_add_u32_e32 v12, 4, v12
	s_cmp_lg_u32 s25, 0
	s_waitcnt lgkmcnt(0)
	v_fma_f32 v6, v14, v15, v6
	s_cbranch_scc1 .LBB1_31
.LBB1_32:                               ;   in Loop: Header=BB1_11 Depth=1
	s_or_b64 exec, exec, s[46:47]
	s_and_saveexec_b64 s[46:47], s[42:43]
	s_cbranch_execz .LBB1_9
; %bb.33:                               ;   in Loop: Header=BB1_11 Depth=1
	v_mov_b32_e32 v12, v19
	s_mov_b32 s25, s37
	v_mov_b32_e32 v13, v20
.LBB1_34:                               ;   Parent Loop BB1_11 Depth=1
                                        ; =>  This Inner Loop Header: Depth=2
	ds_read_b32 v14, v12
	ds_read_b32 v15, v13
	s_add_i32 s25, s25, -1
	v_add_u32_e32 v13, 4, v13
	v_add_u32_e32 v12, 4, v12
	s_cmp_lg_u32 s25, 0
	s_waitcnt lgkmcnt(0)
	v_fma_f32 v1, v14, v15, v1
	s_cbranch_scc1 .LBB1_34
	s_branch .LBB1_9
.LBB1_35:
	v_mov_b32_e32 v6, 0
	v_mov_b32_e32 v1, v6
.LBB1_36:
	s_and_b64 s[8:9], s[28:29], s[8:9]
	s_and_saveexec_b64 s[10:11], s[8:9]
	s_cbranch_execz .LBB1_45
; %bb.37:
	s_load_dwordx2 s[0:1], s[0:1], 0x58
	s_mul_i32 s2, s36, s2
	v_add_u32_e32 v8, s2, v0
	v_ashrrev_i32_e32 v9, 31, v8
	v_cmp_neq_f32_e64 s[2:3], s18, 0
	v_lshl_add_u64 v[8:9], v[8:9], 2, s[30:31]
	s_and_saveexec_b64 s[8:9], s[6:7]
	s_cbranch_execz .LBB1_41
; %bb.38:
	v_ashrrev_i32_e32 v0, 31, v4
	s_and_b64 vcc, exec, s[2:3]
	s_waitcnt lgkmcnt(0)
	v_mul_lo_u32 v3, s1, v4
	v_mul_lo_u32 v5, s0, v0
	v_mul_f32_e32 v0, s24, v6
	s_cbranch_vccz .LBB1_46
; %bb.39:
	v_mad_u64_u32 v[6:7], s[6:7], s0, v4, 0
	v_add3_u32 v7, v7, v5, v3
	v_lshl_add_u64 v[6:7], v[6:7], 2, v[8:9]
	global_load_dword v10, v[6:7], off
	s_waitcnt vmcnt(0)
	v_fma_f32 v10, s18, v10, v0
	global_store_dword v[6:7], v10, off
	s_cbranch_execnz .LBB1_41
.LBB1_40:
	v_mad_u64_u32 v[6:7], s[6:7], s0, v4, 0
	v_add3_u32 v7, v7, v5, v3
	v_lshl_add_u64 v[4:5], v[6:7], 2, v[8:9]
	global_store_dword v[4:5], v0, off
.LBB1_41:
	s_or_b64 exec, exec, s[8:9]
	s_and_b64 exec, exec, s[4:5]
	s_cbranch_execz .LBB1_45
; %bb.42:
	v_ashrrev_i32_e32 v0, 31, v2
	s_andn2_b64 vcc, exec, s[2:3]
	s_waitcnt lgkmcnt(0)
	v_mul_lo_u32 v3, s1, v2
	v_mul_lo_u32 v4, s0, v0
	v_mul_f32_e32 v0, s24, v1
	s_cbranch_vccnz .LBB1_47
; %bb.43:
	v_mad_u64_u32 v[6:7], s[2:3], s0, v2, 0
	v_add3_u32 v7, v7, v4, v3
	v_lshl_add_u64 v[6:7], v[6:7], 2, v[8:9]
	global_load_dword v1, v[6:7], off
	s_waitcnt vmcnt(0)
	v_fma_f32 v1, s18, v1, v0
	global_store_dword v[6:7], v1, off
	s_cbranch_execnz .LBB1_45
.LBB1_44:
	v_mad_u64_u32 v[6:7], s[0:1], s0, v2, 0
	v_add3_u32 v7, v7, v4, v3
	v_lshl_add_u64 v[2:3], v[6:7], 2, v[8:9]
	global_store_dword v[2:3], v0, off
.LBB1_45:
	s_endpgm
.LBB1_46:
	s_branch .LBB1_40
.LBB1_47:
	s_branch .LBB1_44
	.section	.rodata,"a",@progbits
	.p2align	6, 0x0
	.amdhsa_kernel _ZN9rocsparseL33gebsrmm_large_blockdim_kernel_extILi16ELi16ELi2EfEEv20rocsparse_direction_20rocsparse_operation_iiNS_24const_host_device_scalarIT2_EEPKiS7_PKS4_iiS9_lS5_PS4_l21rocsparse_index_base_b
		.amdhsa_group_segment_fixed_size 3072
		.amdhsa_private_segment_fixed_size 0
		.amdhsa_kernarg_size 104
		.amdhsa_user_sgpr_count 2
		.amdhsa_user_sgpr_dispatch_ptr 0
		.amdhsa_user_sgpr_queue_ptr 0
		.amdhsa_user_sgpr_kernarg_segment_ptr 1
		.amdhsa_user_sgpr_dispatch_id 0
		.amdhsa_user_sgpr_kernarg_preload_length 0
		.amdhsa_user_sgpr_kernarg_preload_offset 0
		.amdhsa_user_sgpr_private_segment_size 0
		.amdhsa_uses_dynamic_stack 0
		.amdhsa_enable_private_segment 0
		.amdhsa_system_sgpr_workgroup_id_x 1
		.amdhsa_system_sgpr_workgroup_id_y 1
		.amdhsa_system_sgpr_workgroup_id_z 0
		.amdhsa_system_sgpr_workgroup_info 0
		.amdhsa_system_vgpr_workitem_id 1
		.amdhsa_next_free_vgpr 23
		.amdhsa_next_free_sgpr 52
		.amdhsa_accum_offset 24
		.amdhsa_reserve_vcc 1
		.amdhsa_float_round_mode_32 0
		.amdhsa_float_round_mode_16_64 0
		.amdhsa_float_denorm_mode_32 3
		.amdhsa_float_denorm_mode_16_64 3
		.amdhsa_dx10_clamp 1
		.amdhsa_ieee_mode 1
		.amdhsa_fp16_overflow 0
		.amdhsa_tg_split 0
		.amdhsa_exception_fp_ieee_invalid_op 0
		.amdhsa_exception_fp_denorm_src 0
		.amdhsa_exception_fp_ieee_div_zero 0
		.amdhsa_exception_fp_ieee_overflow 0
		.amdhsa_exception_fp_ieee_underflow 0
		.amdhsa_exception_fp_ieee_inexact 0
		.amdhsa_exception_int_div_zero 0
	.end_amdhsa_kernel
	.section	.text._ZN9rocsparseL33gebsrmm_large_blockdim_kernel_extILi16ELi16ELi2EfEEv20rocsparse_direction_20rocsparse_operation_iiNS_24const_host_device_scalarIT2_EEPKiS7_PKS4_iiS9_lS5_PS4_l21rocsparse_index_base_b,"axG",@progbits,_ZN9rocsparseL33gebsrmm_large_blockdim_kernel_extILi16ELi16ELi2EfEEv20rocsparse_direction_20rocsparse_operation_iiNS_24const_host_device_scalarIT2_EEPKiS7_PKS4_iiS9_lS5_PS4_l21rocsparse_index_base_b,comdat
.Lfunc_end1:
	.size	_ZN9rocsparseL33gebsrmm_large_blockdim_kernel_extILi16ELi16ELi2EfEEv20rocsparse_direction_20rocsparse_operation_iiNS_24const_host_device_scalarIT2_EEPKiS7_PKS4_iiS9_lS5_PS4_l21rocsparse_index_base_b, .Lfunc_end1-_ZN9rocsparseL33gebsrmm_large_blockdim_kernel_extILi16ELi16ELi2EfEEv20rocsparse_direction_20rocsparse_operation_iiNS_24const_host_device_scalarIT2_EEPKiS7_PKS4_iiS9_lS5_PS4_l21rocsparse_index_base_b
                                        ; -- End function
	.set _ZN9rocsparseL33gebsrmm_large_blockdim_kernel_extILi16ELi16ELi2EfEEv20rocsparse_direction_20rocsparse_operation_iiNS_24const_host_device_scalarIT2_EEPKiS7_PKS4_iiS9_lS5_PS4_l21rocsparse_index_base_b.num_vgpr, 23
	.set _ZN9rocsparseL33gebsrmm_large_blockdim_kernel_extILi16ELi16ELi2EfEEv20rocsparse_direction_20rocsparse_operation_iiNS_24const_host_device_scalarIT2_EEPKiS7_PKS4_iiS9_lS5_PS4_l21rocsparse_index_base_b.num_agpr, 0
	.set _ZN9rocsparseL33gebsrmm_large_blockdim_kernel_extILi16ELi16ELi2EfEEv20rocsparse_direction_20rocsparse_operation_iiNS_24const_host_device_scalarIT2_EEPKiS7_PKS4_iiS9_lS5_PS4_l21rocsparse_index_base_b.numbered_sgpr, 52
	.set _ZN9rocsparseL33gebsrmm_large_blockdim_kernel_extILi16ELi16ELi2EfEEv20rocsparse_direction_20rocsparse_operation_iiNS_24const_host_device_scalarIT2_EEPKiS7_PKS4_iiS9_lS5_PS4_l21rocsparse_index_base_b.num_named_barrier, 0
	.set _ZN9rocsparseL33gebsrmm_large_blockdim_kernel_extILi16ELi16ELi2EfEEv20rocsparse_direction_20rocsparse_operation_iiNS_24const_host_device_scalarIT2_EEPKiS7_PKS4_iiS9_lS5_PS4_l21rocsparse_index_base_b.private_seg_size, 0
	.set _ZN9rocsparseL33gebsrmm_large_blockdim_kernel_extILi16ELi16ELi2EfEEv20rocsparse_direction_20rocsparse_operation_iiNS_24const_host_device_scalarIT2_EEPKiS7_PKS4_iiS9_lS5_PS4_l21rocsparse_index_base_b.uses_vcc, 1
	.set _ZN9rocsparseL33gebsrmm_large_blockdim_kernel_extILi16ELi16ELi2EfEEv20rocsparse_direction_20rocsparse_operation_iiNS_24const_host_device_scalarIT2_EEPKiS7_PKS4_iiS9_lS5_PS4_l21rocsparse_index_base_b.uses_flat_scratch, 0
	.set _ZN9rocsparseL33gebsrmm_large_blockdim_kernel_extILi16ELi16ELi2EfEEv20rocsparse_direction_20rocsparse_operation_iiNS_24const_host_device_scalarIT2_EEPKiS7_PKS4_iiS9_lS5_PS4_l21rocsparse_index_base_b.has_dyn_sized_stack, 0
	.set _ZN9rocsparseL33gebsrmm_large_blockdim_kernel_extILi16ELi16ELi2EfEEv20rocsparse_direction_20rocsparse_operation_iiNS_24const_host_device_scalarIT2_EEPKiS7_PKS4_iiS9_lS5_PS4_l21rocsparse_index_base_b.has_recursion, 0
	.set _ZN9rocsparseL33gebsrmm_large_blockdim_kernel_extILi16ELi16ELi2EfEEv20rocsparse_direction_20rocsparse_operation_iiNS_24const_host_device_scalarIT2_EEPKiS7_PKS4_iiS9_lS5_PS4_l21rocsparse_index_base_b.has_indirect_call, 0
	.section	.AMDGPU.csdata,"",@progbits
; Kernel info:
; codeLenInByte = 1388
; TotalNumSgprs: 58
; NumVgprs: 23
; NumAgprs: 0
; TotalNumVgprs: 23
; ScratchSize: 0
; MemoryBound: 0
; FloatMode: 240
; IeeeMode: 1
; LDSByteSize: 3072 bytes/workgroup (compile time only)
; SGPRBlocks: 7
; VGPRBlocks: 2
; NumSGPRsForWavesPerEU: 58
; NumVGPRsForWavesPerEU: 23
; AccumOffset: 24
; Occupancy: 8
; WaveLimiterHint : 1
; COMPUTE_PGM_RSRC2:SCRATCH_EN: 0
; COMPUTE_PGM_RSRC2:USER_SGPR: 2
; COMPUTE_PGM_RSRC2:TRAP_HANDLER: 0
; COMPUTE_PGM_RSRC2:TGID_X_EN: 1
; COMPUTE_PGM_RSRC2:TGID_Y_EN: 1
; COMPUTE_PGM_RSRC2:TGID_Z_EN: 0
; COMPUTE_PGM_RSRC2:TIDIG_COMP_CNT: 1
; COMPUTE_PGM_RSRC3_GFX90A:ACCUM_OFFSET: 5
; COMPUTE_PGM_RSRC3_GFX90A:TG_SPLIT: 0
	.section	.text._ZN9rocsparseL33gebsrmm_large_blockdim_kernel_extILi32ELi32ELi2EfEEv20rocsparse_direction_20rocsparse_operation_iiNS_24const_host_device_scalarIT2_EEPKiS7_PKS4_iiS9_lS5_PS4_l21rocsparse_index_base_b,"axG",@progbits,_ZN9rocsparseL33gebsrmm_large_blockdim_kernel_extILi32ELi32ELi2EfEEv20rocsparse_direction_20rocsparse_operation_iiNS_24const_host_device_scalarIT2_EEPKiS7_PKS4_iiS9_lS5_PS4_l21rocsparse_index_base_b,comdat
	.globl	_ZN9rocsparseL33gebsrmm_large_blockdim_kernel_extILi32ELi32ELi2EfEEv20rocsparse_direction_20rocsparse_operation_iiNS_24const_host_device_scalarIT2_EEPKiS7_PKS4_iiS9_lS5_PS4_l21rocsparse_index_base_b ; -- Begin function _ZN9rocsparseL33gebsrmm_large_blockdim_kernel_extILi32ELi32ELi2EfEEv20rocsparse_direction_20rocsparse_operation_iiNS_24const_host_device_scalarIT2_EEPKiS7_PKS4_iiS9_lS5_PS4_l21rocsparse_index_base_b
	.p2align	8
	.type	_ZN9rocsparseL33gebsrmm_large_blockdim_kernel_extILi32ELi32ELi2EfEEv20rocsparse_direction_20rocsparse_operation_iiNS_24const_host_device_scalarIT2_EEPKiS7_PKS4_iiS9_lS5_PS4_l21rocsparse_index_base_b,@function
_ZN9rocsparseL33gebsrmm_large_blockdim_kernel_extILi32ELi32ELi2EfEEv20rocsparse_direction_20rocsparse_operation_iiNS_24const_host_device_scalarIT2_EEPKiS7_PKS4_iiS9_lS5_PS4_l21rocsparse_index_base_b: ; @_ZN9rocsparseL33gebsrmm_large_blockdim_kernel_extILi32ELi32ELi2EfEEv20rocsparse_direction_20rocsparse_operation_iiNS_24const_host_device_scalarIT2_EEPKiS7_PKS4_iiS9_lS5_PS4_l21rocsparse_index_base_b
; %bb.0:
	s_load_dwordx2 s[26:27], s[0:1], 0x60
	s_load_dwordx2 s[24:25], s[0:1], 0x10
	s_load_dwordx4 s[16:19], s[0:1], 0x40
	s_waitcnt lgkmcnt(0)
	s_bitcmp1_b32 s27, 0
	s_cselect_b64 s[6:7], -1, 0
	s_xor_b64 s[4:5], s[6:7], -1
	s_and_b64 vcc, exec, s[6:7]
	s_cbranch_vccnz .LBB2_2
; %bb.1:
	s_load_dword s24, s[24:25], 0x0
.LBB2_2:
	s_andn2_b64 vcc, exec, s[4:5]
	s_cbranch_vccnz .LBB2_4
; %bb.3:
	s_load_dword s18, s[18:19], 0x0
.LBB2_4:
	s_waitcnt lgkmcnt(0)
	v_cmp_eq_f32_e64 s[4:5], s24, 0
	v_cmp_eq_f32_e64 s[6:7], s18, 1.0
	s_and_b64 s[4:5], s[4:5], s[6:7]
	s_mov_b32 s34, 0
	s_and_b64 vcc, exec, s[4:5]
	s_cbranch_vccnz .LBB2_45
; %bb.5:
	s_load_dwordx4 s[12:15], s[0:1], 0x0
	s_mov_b32 s19, 0
	s_waitcnt lgkmcnt(0)
	s_cmp_lt_i32 s2, s14
	s_cselect_b64 s[28:29], -1, 0
	s_cmp_ge_i32 s2, s14
	s_cbranch_scc1 .LBB2_7
; %bb.6:
	s_load_dwordx2 s[6:7], s[0:1], 0x18
	s_mov_b32 s4, s3
	s_ashr_i32 s3, s2, 31
	s_lshl_b64 s[8:9], s[2:3], 2
	s_mov_b32 s3, s4
	s_waitcnt lgkmcnt(0)
	s_add_u32 s4, s6, s8
	s_addc_u32 s5, s7, s9
	s_load_dwordx2 s[6:7], s[4:5], 0x0
	s_waitcnt lgkmcnt(0)
	s_sub_i32 s34, s6, s26
	s_sub_i32 s19, s7, s26
.LBB2_7:
	s_load_dwordx2 s[30:31], s[0:1], 0x50
	s_load_dwordx2 s[36:37], s[0:1], 0x30
	v_bfe_u32 v6, v0, 10, 10
	v_lshl_add_u32 v4, s3, 6, v6
	v_add_u32_e32 v2, 32, v4
	v_and_b32_e32 v0, 0x3ff, v0
	v_cmp_gt_i32_e64 s[6:7], s15, v4
	v_cmp_gt_i32_e64 s[4:5], s15, v2
	s_cmp_ge_i32 s34, s19
	s_waitcnt lgkmcnt(0)
	v_cmp_gt_i32_e64 s[8:9], s36, v0
	s_cbranch_scc1 .LBB2_35
; %bb.8:
	v_cmp_gt_i32_e32 vcc, s37, v6
	s_and_b64 s[38:39], s[8:9], vcc
	s_load_dwordx4 s[20:23], s[0:1], 0x20
	s_load_dwordx2 s[14:15], s[0:1], 0x38
	v_mov_b32_e32 v1, 0x2000
	s_cmpk_lg_i32 s13, 0x6f
	v_lshlrev_b32_e32 v7, 7, v6
	v_ashrrev_i32_e32 v5, 31, v4
	v_lshl_or_b32 v16, v6, 2, v1
	s_cselect_b64 s[44:45], -1, 0
	s_cmp_eq_u32 s12, 0
	v_mad_u64_u32 v[12:13], s[12:13], s36, v6, v[0:1]
	v_mad_u64_u32 v[14:15], s[12:13], s37, v0, v[6:7]
	v_ashrrev_i32_e32 v3, 31, v2
	v_mul_lo_u32 v1, s17, v4
	v_mul_lo_u32 v6, s16, v5
	v_mad_u64_u32 v[8:9], s[40:41], s16, v4, 0
	s_cselect_b64 vcc, -1, 0
	s_cmp_gt_i32 s37, 0
	v_add3_u32 v9, v9, v6, v1
	v_mul_lo_u32 v1, s17, v2
	v_mul_lo_u32 v6, s16, v3
	v_mad_u64_u32 v[10:11], s[40:41], s16, v2, 0
	v_lshlrev_b32_e32 v17, 2, v0
	v_lshlrev_b32_e32 v13, 7, v0
	s_cselect_b64 s[12:13], -1, 0
	v_add3_u32 v11, v11, v6, v1
	v_cndmask_b32_e32 v18, v12, v14, vcc
	v_mov_b32_e32 v6, 0
	v_cndmask_b32_e64 v12, 0, 1, s[44:45]
	s_mul_i32 s3, s37, s36
	v_cmp_gt_i32_e64 s[10:11], s37, v0
	s_and_b64 s[40:41], s[6:7], s[12:13]
	s_and_b64 s[42:43], s[4:5], s[12:13]
	v_add_u32_e32 v19, 0x2000, v13
	v_add_u32_e32 v20, 0x1000, v7
	v_mov_b32_e32 v1, v6
	v_cmp_ne_u32_e64 s[12:13], 1, v12
	v_add_u32_e32 v21, v17, v7
	v_add_u32_e32 v22, v16, v13
	s_branch .LBB2_11
.LBB2_9:                                ;   in Loop: Header=BB2_11 Depth=1
	s_or_b64 exec, exec, s[46:47]
.LBB2_10:                               ;   in Loop: Header=BB2_11 Depth=1
	s_or_b64 exec, exec, s[44:45]
	s_add_i32 s34, s34, 1
	s_cmp_ge_i32 s34, s19
	s_barrier
	s_cbranch_scc1 .LBB2_36
.LBB2_11:                               ; =>This Loop Header: Depth=1
                                        ;     Child Loop BB2_31 Depth 2
                                        ;     Child Loop BB2_34 Depth 2
	s_and_saveexec_b64 s[44:45], s[10:11]
	s_cbranch_execz .LBB2_26
; %bb.12:                               ;   in Loop: Header=BB2_11 Depth=1
	s_ashr_i32 s35, s34, 31
	s_lshl_b64 s[46:47], s[34:35], 2
	s_waitcnt lgkmcnt(0)
	s_add_u32 s46, s20, s46
	s_addc_u32 s47, s21, s47
	s_load_dword s25, s[46:47], 0x0
	s_and_b64 vcc, exec, s[12:13]
	s_waitcnt lgkmcnt(0)
	s_sub_i32 s25, s25, s26
	s_mul_i32 s25, s25, s37
	v_add_u32_e32 v12, s25, v0
	v_ashrrev_i32_e32 v13, 31, v12
	s_cbranch_vccnz .LBB2_18
; %bb.13:                               ;   in Loop: Header=BB2_11 Depth=1
	v_mul_lo_u32 v16, s17, v12
	v_mul_lo_u32 v17, s16, v13
	v_mad_u64_u32 v[14:15], s[46:47], s16, v12, 0
	v_add3_u32 v15, v15, v17, v16
	v_lshl_add_u64 v[16:17], v[14:15], 2, s[14:15]
	s_and_saveexec_b64 s[46:47], s[6:7]
	s_cbranch_execz .LBB2_15
; %bb.14:                               ;   in Loop: Header=BB2_11 Depth=1
	v_lshl_add_u64 v[14:15], v[4:5], 2, v[16:17]
	global_load_dword v14, v[14:15], off
	s_waitcnt vmcnt(0)
	ds_write_b32 v21, v14
.LBB2_15:                               ;   in Loop: Header=BB2_11 Depth=1
	s_or_b64 exec, exec, s[46:47]
	s_mov_b64 s[48:49], 0
	s_mov_b64 s[46:47], 0
                                        ; implicit-def: $vgpr14_vgpr15
	s_and_saveexec_b64 s[50:51], s[4:5]
	s_xor_b64 s[50:51], exec, s[50:51]
; %bb.16:                               ;   in Loop: Header=BB2_11 Depth=1
	s_mov_b64 s[46:47], exec
	v_lshl_add_u64 v[14:15], v[2:3], 2, v[16:17]
; %bb.17:                               ;   in Loop: Header=BB2_11 Depth=1
	s_or_b64 exec, exec, s[50:51]
	s_and_b64 vcc, exec, s[48:49]
	s_cbranch_vccnz .LBB2_19
	s_branch .LBB2_24
.LBB2_18:                               ;   in Loop: Header=BB2_11 Depth=1
	s_mov_b64 s[46:47], 0
                                        ; implicit-def: $vgpr14_vgpr15
	s_cbranch_execz .LBB2_24
.LBB2_19:                               ;   in Loop: Header=BB2_11 Depth=1
	v_lshl_add_u64 v[12:13], v[12:13], 2, s[14:15]
	s_and_saveexec_b64 s[48:49], s[6:7]
	s_cbranch_execz .LBB2_21
; %bb.20:                               ;   in Loop: Header=BB2_11 Depth=1
	v_lshl_add_u64 v[14:15], v[8:9], 2, v[12:13]
	global_load_dword v14, v[14:15], off
	s_waitcnt vmcnt(0)
	ds_write_b32 v21, v14
.LBB2_21:                               ;   in Loop: Header=BB2_11 Depth=1
	s_or_b64 exec, exec, s[48:49]
                                        ; implicit-def: $vgpr14_vgpr15
	s_and_saveexec_b64 s[48:49], s[4:5]
; %bb.22:                               ;   in Loop: Header=BB2_11 Depth=1
	v_lshl_add_u64 v[14:15], v[10:11], 2, v[12:13]
	s_or_b64 s[46:47], s[46:47], exec
; %bb.23:                               ;   in Loop: Header=BB2_11 Depth=1
	s_or_b64 exec, exec, s[48:49]
.LBB2_24:                               ;   in Loop: Header=BB2_11 Depth=1
	s_and_b64 exec, exec, s[46:47]
	s_cbranch_execz .LBB2_26
; %bb.25:                               ;   in Loop: Header=BB2_11 Depth=1
	global_load_dword v12, v[14:15], off
	s_waitcnt vmcnt(0)
	ds_write_b32 v21, v12 offset:4096
.LBB2_26:                               ;   in Loop: Header=BB2_11 Depth=1
	s_or_b64 exec, exec, s[44:45]
	s_and_saveexec_b64 s[44:45], s[38:39]
	s_cbranch_execz .LBB2_28
; %bb.27:                               ;   in Loop: Header=BB2_11 Depth=1
	s_mul_i32 s25, s3, s34
	v_add_u32_e32 v12, s25, v18
	v_ashrrev_i32_e32 v13, 31, v12
	s_waitcnt lgkmcnt(0)
	v_lshl_add_u64 v[12:13], v[12:13], 2, s[22:23]
	global_load_dword v12, v[12:13], off
	s_waitcnt vmcnt(0)
	ds_write_b32 v22, v12
.LBB2_28:                               ;   in Loop: Header=BB2_11 Depth=1
	s_or_b64 exec, exec, s[44:45]
	s_waitcnt lgkmcnt(0)
	s_barrier
	s_and_saveexec_b64 s[44:45], s[8:9]
	s_cbranch_execz .LBB2_10
; %bb.29:                               ;   in Loop: Header=BB2_11 Depth=1
	s_and_saveexec_b64 s[46:47], s[40:41]
	s_cbranch_execz .LBB2_32
; %bb.30:                               ;   in Loop: Header=BB2_11 Depth=1
	v_mov_b32_e32 v12, v19
	v_mov_b32_e32 v13, v7
	s_mov_b32 s25, s37
.LBB2_31:                               ;   Parent Loop BB2_11 Depth=1
                                        ; =>  This Inner Loop Header: Depth=2
	ds_read_b32 v14, v12
	ds_read_b32 v15, v13
	s_add_i32 s25, s25, -1
	v_add_u32_e32 v13, 4, v13
	v_add_u32_e32 v12, 4, v12
	s_cmp_lg_u32 s25, 0
	s_waitcnt lgkmcnt(0)
	v_fma_f32 v6, v14, v15, v6
	s_cbranch_scc1 .LBB2_31
.LBB2_32:                               ;   in Loop: Header=BB2_11 Depth=1
	s_or_b64 exec, exec, s[46:47]
	s_and_saveexec_b64 s[46:47], s[42:43]
	s_cbranch_execz .LBB2_9
; %bb.33:                               ;   in Loop: Header=BB2_11 Depth=1
	v_mov_b32_e32 v12, v19
	s_mov_b32 s25, s37
	v_mov_b32_e32 v13, v20
.LBB2_34:                               ;   Parent Loop BB2_11 Depth=1
                                        ; =>  This Inner Loop Header: Depth=2
	ds_read_b32 v14, v12
	ds_read_b32 v15, v13
	s_add_i32 s25, s25, -1
	v_add_u32_e32 v13, 4, v13
	v_add_u32_e32 v12, 4, v12
	s_cmp_lg_u32 s25, 0
	s_waitcnt lgkmcnt(0)
	v_fma_f32 v1, v14, v15, v1
	s_cbranch_scc1 .LBB2_34
	s_branch .LBB2_9
.LBB2_35:
	v_mov_b32_e32 v6, 0
	v_mov_b32_e32 v1, v6
.LBB2_36:
	s_and_b64 s[8:9], s[28:29], s[8:9]
	s_and_saveexec_b64 s[10:11], s[8:9]
	s_cbranch_execz .LBB2_45
; %bb.37:
	s_load_dwordx2 s[0:1], s[0:1], 0x58
	s_mul_i32 s2, s36, s2
	v_add_u32_e32 v8, s2, v0
	v_ashrrev_i32_e32 v9, 31, v8
	v_cmp_neq_f32_e64 s[2:3], s18, 0
	v_lshl_add_u64 v[8:9], v[8:9], 2, s[30:31]
	s_and_saveexec_b64 s[8:9], s[6:7]
	s_cbranch_execz .LBB2_41
; %bb.38:
	v_ashrrev_i32_e32 v0, 31, v4
	s_and_b64 vcc, exec, s[2:3]
	s_waitcnt lgkmcnt(0)
	v_mul_lo_u32 v3, s1, v4
	v_mul_lo_u32 v5, s0, v0
	v_mul_f32_e32 v0, s24, v6
	s_cbranch_vccz .LBB2_46
; %bb.39:
	v_mad_u64_u32 v[6:7], s[6:7], s0, v4, 0
	v_add3_u32 v7, v7, v5, v3
	v_lshl_add_u64 v[6:7], v[6:7], 2, v[8:9]
	global_load_dword v10, v[6:7], off
	s_waitcnt vmcnt(0)
	v_fma_f32 v10, s18, v10, v0
	global_store_dword v[6:7], v10, off
	s_cbranch_execnz .LBB2_41
.LBB2_40:
	v_mad_u64_u32 v[6:7], s[6:7], s0, v4, 0
	v_add3_u32 v7, v7, v5, v3
	v_lshl_add_u64 v[4:5], v[6:7], 2, v[8:9]
	global_store_dword v[4:5], v0, off
.LBB2_41:
	s_or_b64 exec, exec, s[8:9]
	s_and_b64 exec, exec, s[4:5]
	s_cbranch_execz .LBB2_45
; %bb.42:
	v_ashrrev_i32_e32 v0, 31, v2
	s_andn2_b64 vcc, exec, s[2:3]
	s_waitcnt lgkmcnt(0)
	v_mul_lo_u32 v3, s1, v2
	v_mul_lo_u32 v4, s0, v0
	v_mul_f32_e32 v0, s24, v1
	s_cbranch_vccnz .LBB2_47
; %bb.43:
	v_mad_u64_u32 v[6:7], s[2:3], s0, v2, 0
	v_add3_u32 v7, v7, v4, v3
	v_lshl_add_u64 v[6:7], v[6:7], 2, v[8:9]
	global_load_dword v1, v[6:7], off
	s_waitcnt vmcnt(0)
	v_fma_f32 v1, s18, v1, v0
	global_store_dword v[6:7], v1, off
	s_cbranch_execnz .LBB2_45
.LBB2_44:
	v_mad_u64_u32 v[6:7], s[0:1], s0, v2, 0
	v_add3_u32 v7, v7, v4, v3
	v_lshl_add_u64 v[2:3], v[6:7], 2, v[8:9]
	global_store_dword v[2:3], v0, off
.LBB2_45:
	s_endpgm
.LBB2_46:
	s_branch .LBB2_40
.LBB2_47:
	s_branch .LBB2_44
	.section	.rodata,"a",@progbits
	.p2align	6, 0x0
	.amdhsa_kernel _ZN9rocsparseL33gebsrmm_large_blockdim_kernel_extILi32ELi32ELi2EfEEv20rocsparse_direction_20rocsparse_operation_iiNS_24const_host_device_scalarIT2_EEPKiS7_PKS4_iiS9_lS5_PS4_l21rocsparse_index_base_b
		.amdhsa_group_segment_fixed_size 12288
		.amdhsa_private_segment_fixed_size 0
		.amdhsa_kernarg_size 104
		.amdhsa_user_sgpr_count 2
		.amdhsa_user_sgpr_dispatch_ptr 0
		.amdhsa_user_sgpr_queue_ptr 0
		.amdhsa_user_sgpr_kernarg_segment_ptr 1
		.amdhsa_user_sgpr_dispatch_id 0
		.amdhsa_user_sgpr_kernarg_preload_length 0
		.amdhsa_user_sgpr_kernarg_preload_offset 0
		.amdhsa_user_sgpr_private_segment_size 0
		.amdhsa_uses_dynamic_stack 0
		.amdhsa_enable_private_segment 0
		.amdhsa_system_sgpr_workgroup_id_x 1
		.amdhsa_system_sgpr_workgroup_id_y 1
		.amdhsa_system_sgpr_workgroup_id_z 0
		.amdhsa_system_sgpr_workgroup_info 0
		.amdhsa_system_vgpr_workitem_id 1
		.amdhsa_next_free_vgpr 23
		.amdhsa_next_free_sgpr 52
		.amdhsa_accum_offset 24
		.amdhsa_reserve_vcc 1
		.amdhsa_float_round_mode_32 0
		.amdhsa_float_round_mode_16_64 0
		.amdhsa_float_denorm_mode_32 3
		.amdhsa_float_denorm_mode_16_64 3
		.amdhsa_dx10_clamp 1
		.amdhsa_ieee_mode 1
		.amdhsa_fp16_overflow 0
		.amdhsa_tg_split 0
		.amdhsa_exception_fp_ieee_invalid_op 0
		.amdhsa_exception_fp_denorm_src 0
		.amdhsa_exception_fp_ieee_div_zero 0
		.amdhsa_exception_fp_ieee_overflow 0
		.amdhsa_exception_fp_ieee_underflow 0
		.amdhsa_exception_fp_ieee_inexact 0
		.amdhsa_exception_int_div_zero 0
	.end_amdhsa_kernel
	.section	.text._ZN9rocsparseL33gebsrmm_large_blockdim_kernel_extILi32ELi32ELi2EfEEv20rocsparse_direction_20rocsparse_operation_iiNS_24const_host_device_scalarIT2_EEPKiS7_PKS4_iiS9_lS5_PS4_l21rocsparse_index_base_b,"axG",@progbits,_ZN9rocsparseL33gebsrmm_large_blockdim_kernel_extILi32ELi32ELi2EfEEv20rocsparse_direction_20rocsparse_operation_iiNS_24const_host_device_scalarIT2_EEPKiS7_PKS4_iiS9_lS5_PS4_l21rocsparse_index_base_b,comdat
.Lfunc_end2:
	.size	_ZN9rocsparseL33gebsrmm_large_blockdim_kernel_extILi32ELi32ELi2EfEEv20rocsparse_direction_20rocsparse_operation_iiNS_24const_host_device_scalarIT2_EEPKiS7_PKS4_iiS9_lS5_PS4_l21rocsparse_index_base_b, .Lfunc_end2-_ZN9rocsparseL33gebsrmm_large_blockdim_kernel_extILi32ELi32ELi2EfEEv20rocsparse_direction_20rocsparse_operation_iiNS_24const_host_device_scalarIT2_EEPKiS7_PKS4_iiS9_lS5_PS4_l21rocsparse_index_base_b
                                        ; -- End function
	.set _ZN9rocsparseL33gebsrmm_large_blockdim_kernel_extILi32ELi32ELi2EfEEv20rocsparse_direction_20rocsparse_operation_iiNS_24const_host_device_scalarIT2_EEPKiS7_PKS4_iiS9_lS5_PS4_l21rocsparse_index_base_b.num_vgpr, 23
	.set _ZN9rocsparseL33gebsrmm_large_blockdim_kernel_extILi32ELi32ELi2EfEEv20rocsparse_direction_20rocsparse_operation_iiNS_24const_host_device_scalarIT2_EEPKiS7_PKS4_iiS9_lS5_PS4_l21rocsparse_index_base_b.num_agpr, 0
	.set _ZN9rocsparseL33gebsrmm_large_blockdim_kernel_extILi32ELi32ELi2EfEEv20rocsparse_direction_20rocsparse_operation_iiNS_24const_host_device_scalarIT2_EEPKiS7_PKS4_iiS9_lS5_PS4_l21rocsparse_index_base_b.numbered_sgpr, 52
	.set _ZN9rocsparseL33gebsrmm_large_blockdim_kernel_extILi32ELi32ELi2EfEEv20rocsparse_direction_20rocsparse_operation_iiNS_24const_host_device_scalarIT2_EEPKiS7_PKS4_iiS9_lS5_PS4_l21rocsparse_index_base_b.num_named_barrier, 0
	.set _ZN9rocsparseL33gebsrmm_large_blockdim_kernel_extILi32ELi32ELi2EfEEv20rocsparse_direction_20rocsparse_operation_iiNS_24const_host_device_scalarIT2_EEPKiS7_PKS4_iiS9_lS5_PS4_l21rocsparse_index_base_b.private_seg_size, 0
	.set _ZN9rocsparseL33gebsrmm_large_blockdim_kernel_extILi32ELi32ELi2EfEEv20rocsparse_direction_20rocsparse_operation_iiNS_24const_host_device_scalarIT2_EEPKiS7_PKS4_iiS9_lS5_PS4_l21rocsparse_index_base_b.uses_vcc, 1
	.set _ZN9rocsparseL33gebsrmm_large_blockdim_kernel_extILi32ELi32ELi2EfEEv20rocsparse_direction_20rocsparse_operation_iiNS_24const_host_device_scalarIT2_EEPKiS7_PKS4_iiS9_lS5_PS4_l21rocsparse_index_base_b.uses_flat_scratch, 0
	.set _ZN9rocsparseL33gebsrmm_large_blockdim_kernel_extILi32ELi32ELi2EfEEv20rocsparse_direction_20rocsparse_operation_iiNS_24const_host_device_scalarIT2_EEPKiS7_PKS4_iiS9_lS5_PS4_l21rocsparse_index_base_b.has_dyn_sized_stack, 0
	.set _ZN9rocsparseL33gebsrmm_large_blockdim_kernel_extILi32ELi32ELi2EfEEv20rocsparse_direction_20rocsparse_operation_iiNS_24const_host_device_scalarIT2_EEPKiS7_PKS4_iiS9_lS5_PS4_l21rocsparse_index_base_b.has_recursion, 0
	.set _ZN9rocsparseL33gebsrmm_large_blockdim_kernel_extILi32ELi32ELi2EfEEv20rocsparse_direction_20rocsparse_operation_iiNS_24const_host_device_scalarIT2_EEPKiS7_PKS4_iiS9_lS5_PS4_l21rocsparse_index_base_b.has_indirect_call, 0
	.section	.AMDGPU.csdata,"",@progbits
; Kernel info:
; codeLenInByte = 1388
; TotalNumSgprs: 58
; NumVgprs: 23
; NumAgprs: 0
; TotalNumVgprs: 23
; ScratchSize: 0
; MemoryBound: 0
; FloatMode: 240
; IeeeMode: 1
; LDSByteSize: 12288 bytes/workgroup (compile time only)
; SGPRBlocks: 7
; VGPRBlocks: 2
; NumSGPRsForWavesPerEU: 58
; NumVGPRsForWavesPerEU: 23
; AccumOffset: 24
; Occupancy: 8
; WaveLimiterHint : 1
; COMPUTE_PGM_RSRC2:SCRATCH_EN: 0
; COMPUTE_PGM_RSRC2:USER_SGPR: 2
; COMPUTE_PGM_RSRC2:TRAP_HANDLER: 0
; COMPUTE_PGM_RSRC2:TGID_X_EN: 1
; COMPUTE_PGM_RSRC2:TGID_Y_EN: 1
; COMPUTE_PGM_RSRC2:TGID_Z_EN: 0
; COMPUTE_PGM_RSRC2:TIDIG_COMP_CNT: 1
; COMPUTE_PGM_RSRC3_GFX90A:ACCUM_OFFSET: 5
; COMPUTE_PGM_RSRC3_GFX90A:TG_SPLIT: 0
	.section	.text._ZN9rocsparseL33gebsrmm_large_blockdim_kernel_extILi8ELi8ELi2EdEEv20rocsparse_direction_20rocsparse_operation_iiNS_24const_host_device_scalarIT2_EEPKiS7_PKS4_iiS9_lS5_PS4_l21rocsparse_index_base_b,"axG",@progbits,_ZN9rocsparseL33gebsrmm_large_blockdim_kernel_extILi8ELi8ELi2EdEEv20rocsparse_direction_20rocsparse_operation_iiNS_24const_host_device_scalarIT2_EEPKiS7_PKS4_iiS9_lS5_PS4_l21rocsparse_index_base_b,comdat
	.globl	_ZN9rocsparseL33gebsrmm_large_blockdim_kernel_extILi8ELi8ELi2EdEEv20rocsparse_direction_20rocsparse_operation_iiNS_24const_host_device_scalarIT2_EEPKiS7_PKS4_iiS9_lS5_PS4_l21rocsparse_index_base_b ; -- Begin function _ZN9rocsparseL33gebsrmm_large_blockdim_kernel_extILi8ELi8ELi2EdEEv20rocsparse_direction_20rocsparse_operation_iiNS_24const_host_device_scalarIT2_EEPKiS7_PKS4_iiS9_lS5_PS4_l21rocsparse_index_base_b
	.p2align	8
	.type	_ZN9rocsparseL33gebsrmm_large_blockdim_kernel_extILi8ELi8ELi2EdEEv20rocsparse_direction_20rocsparse_operation_iiNS_24const_host_device_scalarIT2_EEPKiS7_PKS4_iiS9_lS5_PS4_l21rocsparse_index_base_b,@function
_ZN9rocsparseL33gebsrmm_large_blockdim_kernel_extILi8ELi8ELi2EdEEv20rocsparse_direction_20rocsparse_operation_iiNS_24const_host_device_scalarIT2_EEPKiS7_PKS4_iiS9_lS5_PS4_l21rocsparse_index_base_b: ; @_ZN9rocsparseL33gebsrmm_large_blockdim_kernel_extILi8ELi8ELi2EdEEv20rocsparse_direction_20rocsparse_operation_iiNS_24const_host_device_scalarIT2_EEPKiS7_PKS4_iiS9_lS5_PS4_l21rocsparse_index_base_b
; %bb.0:
	s_load_dwordx2 s[24:25], s[0:1], 0x60
	s_load_dwordx2 s[6:7], s[0:1], 0x10
	s_load_dwordx4 s[16:19], s[0:1], 0x40
	s_waitcnt lgkmcnt(0)
	s_bitcmp1_b32 s25, 0
	s_cselect_b64 s[8:9], -1, 0
	s_xor_b64 s[4:5], s[8:9], -1
	s_and_b64 vcc, exec, s[8:9]
	v_mov_b64_e32 v[4:5], s[6:7]
	s_cbranch_vccnz .LBB3_2
; %bb.1:
	v_mov_b64_e32 v[2:3], s[6:7]
	flat_load_dwordx2 v[4:5], v[2:3]
.LBB3_2:
	s_andn2_b64 vcc, exec, s[4:5]
	v_mov_b64_e32 v[6:7], s[18:19]
	s_cbranch_vccnz .LBB3_4
; %bb.3:
	v_mov_b64_e32 v[2:3], s[18:19]
	flat_load_dwordx2 v[6:7], v[2:3]
.LBB3_4:
	s_waitcnt vmcnt(0) lgkmcnt(0)
	v_cmp_neq_f64_e32 vcc, 0, v[4:5]
	v_cmp_neq_f64_e64 s[4:5], 1.0, v[6:7]
	s_or_b64 s[4:5], vcc, s[4:5]
	s_and_saveexec_b64 s[6:7], s[4:5]
	s_cbranch_execz .LBB3_47
; %bb.5:
	s_load_dwordx4 s[12:15], s[0:1], 0x0
	s_mov_b32 s30, 0
	s_mov_b32 s25, 0
	s_waitcnt lgkmcnt(0)
	s_cmp_lt_i32 s2, s14
	s_cselect_b64 s[18:19], -1, 0
	s_cmp_ge_i32 s2, s14
	s_cbranch_scc1 .LBB3_7
; %bb.6:
	s_load_dwordx2 s[6:7], s[0:1], 0x18
	s_mov_b32 s4, s3
	s_ashr_i32 s3, s2, 31
	s_lshl_b64 s[8:9], s[2:3], 2
	s_mov_b32 s3, s4
	s_waitcnt lgkmcnt(0)
	s_add_u32 s4, s6, s8
	s_addc_u32 s5, s7, s9
	s_load_dwordx2 s[6:7], s[4:5], 0x0
	s_waitcnt lgkmcnt(0)
	s_sub_i32 s30, s6, s24
	s_sub_i32 s25, s7, s24
.LBB3_7:
	s_load_dwordx2 s[26:27], s[0:1], 0x50
	s_load_dwordx2 s[28:29], s[0:1], 0x30
	v_bfe_u32 v2, v0, 10, 10
	v_lshl_add_u32 v10, s3, 4, v2
	v_add_u32_e32 v8, 8, v10
	v_and_b32_e32 v0, 0x3ff, v0
	v_cmp_gt_i32_e64 s[6:7], s15, v10
	v_cmp_gt_i32_e64 s[4:5], s15, v8
	s_cmp_ge_i32 s30, s25
	s_waitcnt lgkmcnt(0)
	v_cmp_gt_i32_e64 s[8:9], s28, v0
	s_cbranch_scc1 .LBB3_35
; %bb.8:
	v_cmp_gt_i32_e32 vcc, s29, v2
	s_and_b64 s[34:35], s[8:9], vcc
	v_mov_b32_e32 v1, 0x400
	s_load_dwordx4 s[20:23], s[0:1], 0x20
	s_load_dwordx2 s[14:15], s[0:1], 0x38
	v_lshl_add_u32 v18, v2, 3, v1
	s_cmpk_lg_i32 s13, 0x6f
	v_lshlrev_b32_e32 v1, 6, v2
	s_cselect_b64 s[40:41], -1, 0
	s_cmp_eq_u32 s12, 0
	v_mad_u64_u32 v[12:13], s[12:13], s28, v2, v[0:1]
	v_mad_u64_u32 v[2:3], s[12:13], s29, v0, v[2:3]
	v_ashrrev_i32_e32 v11, 31, v10
	s_cselect_b64 vcc, -1, 0
	s_cmp_gt_i32 s29, 0
	v_ashrrev_i32_e32 v9, 31, v8
	v_mul_lo_u32 v3, s17, v10
	v_mul_lo_u32 v13, s16, v11
	v_mad_u64_u32 v[14:15], s[36:37], s16, v10, 0
	v_lshlrev_b32_e32 v19, 3, v0
	v_lshlrev_b32_e32 v20, 6, v0
	s_cselect_b64 s[12:13], -1, 0
	v_add3_u32 v15, v15, v13, v3
	v_mul_lo_u32 v3, s17, v8
	v_mul_lo_u32 v13, s16, v9
	v_mad_u64_u32 v[16:17], s[36:37], s16, v8, 0
	v_cndmask_b32_e32 v24, v12, v2, vcc
	v_mov_b32_e32 v12, 0
	v_cndmask_b32_e64 v21, 0, 1, s[40:41]
	s_mul_i32 s3, s29, s28
	v_cmp_gt_i32_e64 s[10:11], s29, v0
	v_add3_u32 v17, v17, v13, v3
	s_and_b64 s[36:37], s[6:7], s[12:13]
	s_and_b64 s[38:39], s[4:5], s[12:13]
	v_add_u32_e32 v25, 0x400, v20
	v_add_u32_e32 v26, 0x200, v1
	v_mov_b32_e32 v13, v12
	v_mov_b32_e32 v2, v12
	v_mov_b32_e32 v3, v12
	v_cmp_ne_u32_e64 s[12:13], 1, v21
	v_add_u32_e32 v27, v18, v20
	v_add_u32_e32 v28, v19, v1
	s_branch .LBB3_11
.LBB3_9:                                ;   in Loop: Header=BB3_11 Depth=1
	s_or_b64 exec, exec, s[42:43]
.LBB3_10:                               ;   in Loop: Header=BB3_11 Depth=1
	s_or_b64 exec, exec, s[40:41]
	s_add_i32 s30, s30, 1
	s_cmp_ge_i32 s30, s25
	; wave barrier
	s_cbranch_scc1 .LBB3_36
.LBB3_11:                               ; =>This Loop Header: Depth=1
                                        ;     Child Loop BB3_31 Depth 2
                                        ;     Child Loop BB3_34 Depth 2
	s_and_saveexec_b64 s[40:41], s[10:11]
	s_cbranch_execz .LBB3_26
; %bb.12:                               ;   in Loop: Header=BB3_11 Depth=1
	s_ashr_i32 s31, s30, 31
	s_lshl_b64 s[42:43], s[30:31], 2
	s_waitcnt lgkmcnt(0)
	s_add_u32 s42, s20, s42
	s_addc_u32 s43, s21, s43
	s_load_dword s31, s[42:43], 0x0
	s_and_b64 vcc, exec, s[12:13]
	s_waitcnt lgkmcnt(0)
	s_sub_i32 s31, s31, s24
	s_mul_i32 s31, s31, s29
	v_add_u32_e32 v18, s31, v0
	v_ashrrev_i32_e32 v19, 31, v18
	s_cbranch_vccnz .LBB3_18
; %bb.13:                               ;   in Loop: Header=BB3_11 Depth=1
	v_mul_lo_u32 v22, s17, v18
	v_mul_lo_u32 v23, s16, v19
	v_mad_u64_u32 v[20:21], s[42:43], s16, v18, 0
	v_add3_u32 v21, v21, v23, v22
	v_lshl_add_u64 v[22:23], v[20:21], 3, s[14:15]
	s_and_saveexec_b64 s[42:43], s[6:7]
	s_cbranch_execz .LBB3_15
; %bb.14:                               ;   in Loop: Header=BB3_11 Depth=1
	v_lshl_add_u64 v[20:21], v[10:11], 3, v[22:23]
	global_load_dwordx2 v[20:21], v[20:21], off
	s_waitcnt vmcnt(0)
	ds_write_b64 v28, v[20:21]
.LBB3_15:                               ;   in Loop: Header=BB3_11 Depth=1
	s_or_b64 exec, exec, s[42:43]
	s_mov_b64 s[44:45], 0
	s_mov_b64 s[42:43], 0
                                        ; implicit-def: $vgpr20_vgpr21
	s_and_saveexec_b64 s[46:47], s[4:5]
	s_xor_b64 s[46:47], exec, s[46:47]
; %bb.16:                               ;   in Loop: Header=BB3_11 Depth=1
	s_mov_b64 s[42:43], exec
	v_lshl_add_u64 v[20:21], v[8:9], 3, v[22:23]
; %bb.17:                               ;   in Loop: Header=BB3_11 Depth=1
	s_or_b64 exec, exec, s[46:47]
	s_and_b64 vcc, exec, s[44:45]
	s_cbranch_vccnz .LBB3_19
	s_branch .LBB3_24
.LBB3_18:                               ;   in Loop: Header=BB3_11 Depth=1
	s_mov_b64 s[42:43], 0
                                        ; implicit-def: $vgpr20_vgpr21
	s_cbranch_execz .LBB3_24
.LBB3_19:                               ;   in Loop: Header=BB3_11 Depth=1
	v_lshl_add_u64 v[18:19], v[18:19], 3, s[14:15]
	s_and_saveexec_b64 s[44:45], s[6:7]
	s_cbranch_execz .LBB3_21
; %bb.20:                               ;   in Loop: Header=BB3_11 Depth=1
	v_lshl_add_u64 v[20:21], v[14:15], 3, v[18:19]
	global_load_dwordx2 v[20:21], v[20:21], off
	s_waitcnt vmcnt(0)
	ds_write_b64 v28, v[20:21]
.LBB3_21:                               ;   in Loop: Header=BB3_11 Depth=1
	s_or_b64 exec, exec, s[44:45]
                                        ; implicit-def: $vgpr20_vgpr21
	s_and_saveexec_b64 s[44:45], s[4:5]
; %bb.22:                               ;   in Loop: Header=BB3_11 Depth=1
	v_lshl_add_u64 v[20:21], v[16:17], 3, v[18:19]
	s_or_b64 s[42:43], s[42:43], exec
; %bb.23:                               ;   in Loop: Header=BB3_11 Depth=1
	s_or_b64 exec, exec, s[44:45]
.LBB3_24:                               ;   in Loop: Header=BB3_11 Depth=1
	s_and_b64 exec, exec, s[42:43]
	s_cbranch_execz .LBB3_26
; %bb.25:                               ;   in Loop: Header=BB3_11 Depth=1
	global_load_dwordx2 v[18:19], v[20:21], off
	s_waitcnt vmcnt(0)
	ds_write_b64 v28, v[18:19] offset:512
.LBB3_26:                               ;   in Loop: Header=BB3_11 Depth=1
	s_or_b64 exec, exec, s[40:41]
	s_and_saveexec_b64 s[40:41], s[34:35]
	s_cbranch_execz .LBB3_28
; %bb.27:                               ;   in Loop: Header=BB3_11 Depth=1
	s_mul_i32 s31, s3, s30
	v_add_u32_e32 v18, s31, v24
	v_ashrrev_i32_e32 v19, 31, v18
	s_waitcnt lgkmcnt(0)
	v_lshl_add_u64 v[18:19], v[18:19], 3, s[22:23]
	global_load_dwordx2 v[18:19], v[18:19], off
	s_waitcnt vmcnt(0)
	ds_write_b64 v27, v[18:19]
.LBB3_28:                               ;   in Loop: Header=BB3_11 Depth=1
	s_or_b64 exec, exec, s[40:41]
	s_waitcnt lgkmcnt(0)
	; wave barrier
	s_and_saveexec_b64 s[40:41], s[8:9]
	s_cbranch_execz .LBB3_10
; %bb.29:                               ;   in Loop: Header=BB3_11 Depth=1
	s_and_saveexec_b64 s[42:43], s[36:37]
	s_cbranch_execz .LBB3_32
; %bb.30:                               ;   in Loop: Header=BB3_11 Depth=1
	v_mov_b32_e32 v18, v25
	v_mov_b32_e32 v19, v1
	s_mov_b32 s31, s29
.LBB3_31:                               ;   Parent Loop BB3_11 Depth=1
                                        ; =>  This Inner Loop Header: Depth=2
	ds_read_b64 v[20:21], v18
	ds_read_b64 v[22:23], v19
	s_add_i32 s31, s31, -1
	v_add_u32_e32 v19, 8, v19
	v_add_u32_e32 v18, 8, v18
	s_cmp_lg_u32 s31, 0
	s_waitcnt lgkmcnt(0)
	v_fmac_f64_e32 v[12:13], v[20:21], v[22:23]
	s_cbranch_scc1 .LBB3_31
.LBB3_32:                               ;   in Loop: Header=BB3_11 Depth=1
	s_or_b64 exec, exec, s[42:43]
	s_and_saveexec_b64 s[42:43], s[38:39]
	s_cbranch_execz .LBB3_9
; %bb.33:                               ;   in Loop: Header=BB3_11 Depth=1
	v_mov_b32_e32 v18, v25
	s_mov_b32 s31, s29
	v_mov_b32_e32 v19, v26
.LBB3_34:                               ;   Parent Loop BB3_11 Depth=1
                                        ; =>  This Inner Loop Header: Depth=2
	ds_read_b64 v[20:21], v18
	ds_read_b64 v[22:23], v19
	s_add_i32 s31, s31, -1
	v_add_u32_e32 v19, 8, v19
	v_add_u32_e32 v18, 8, v18
	s_cmp_lg_u32 s31, 0
	s_waitcnt lgkmcnt(0)
	v_fmac_f64_e32 v[2:3], v[20:21], v[22:23]
	s_cbranch_scc1 .LBB3_34
	s_branch .LBB3_9
.LBB3_35:
	v_mov_b32_e32 v12, 0
	v_mov_b32_e32 v13, v12
	v_mov_b32_e32 v2, v12
	v_mov_b32_e32 v3, v12
.LBB3_36:
	s_and_b64 s[8:9], s[18:19], s[8:9]
	s_and_b64 exec, exec, s[8:9]
	s_cbranch_execz .LBB3_47
; %bb.37:
	s_load_dwordx2 s[0:1], s[0:1], 0x58
	s_mul_i32 s2, s28, s2
	v_add_u32_e32 v0, s2, v0
	v_ashrrev_i32_e32 v1, 31, v0
	v_cmp_neq_f64_e32 vcc, 0, v[6:7]
	v_lshl_add_u64 v[0:1], v[0:1], 3, s[26:27]
	s_and_saveexec_b64 s[2:3], s[6:7]
	s_cbranch_execz .LBB3_42
; %bb.38:
	v_ashrrev_i32_e32 v9, 31, v10
	s_waitcnt lgkmcnt(0)
	v_mul_lo_u32 v11, s1, v10
	v_mul_lo_u32 v9, s0, v9
	s_and_saveexec_b64 s[6:7], vcc
	s_xor_b64 s[6:7], exec, s[6:7]
	s_cbranch_execz .LBB3_40
; %bb.39:
	v_mad_u64_u32 v[14:15], s[8:9], s0, v10, 0
	v_add3_u32 v15, v15, v9, v11
	v_lshl_add_u64 v[10:11], v[14:15], 3, v[0:1]
	global_load_dwordx2 v[14:15], v[10:11], off
	v_mul_f64 v[16:17], v[4:5], v[12:13]
                                        ; implicit-def: $vgpr9
	s_waitcnt vmcnt(0)
	v_fmac_f64_e32 v[16:17], v[6:7], v[14:15]
	global_store_dwordx2 v[10:11], v[16:17], off
                                        ; implicit-def: $vgpr10
                                        ; implicit-def: $vgpr11
.LBB3_40:
	s_andn2_saveexec_b64 s[6:7], s[6:7]
	s_cbranch_execz .LBB3_42
; %bb.41:
	v_mad_u64_u32 v[14:15], s[6:7], s0, v10, 0
	v_add3_u32 v15, v15, v9, v11
	v_mul_f64 v[12:13], v[4:5], v[12:13]
	v_lshl_add_u64 v[10:11], v[14:15], 3, v[0:1]
	global_store_dwordx2 v[10:11], v[12:13], off
.LBB3_42:
	s_or_b64 exec, exec, s[2:3]
	s_and_b64 exec, exec, s[4:5]
	s_cbranch_execz .LBB3_47
; %bb.43:
	v_ashrrev_i32_e32 v9, 31, v8
	s_waitcnt lgkmcnt(0)
	v_mul_lo_u32 v10, s1, v8
	v_mul_lo_u32 v9, s0, v9
	s_and_saveexec_b64 s[2:3], vcc
	s_xor_b64 s[2:3], exec, s[2:3]
	s_cbranch_execz .LBB3_45
; %bb.44:
	v_mad_u64_u32 v[12:13], s[4:5], s0, v8, 0
	v_add3_u32 v13, v13, v9, v10
	v_lshl_add_u64 v[0:1], v[12:13], 3, v[0:1]
	global_load_dwordx2 v[8:9], v[0:1], off
	v_mul_f64 v[2:3], v[4:5], v[2:3]
                                        ; implicit-def: $vgpr4_vgpr5
                                        ; implicit-def: $vgpr10
	s_waitcnt vmcnt(0)
	v_fmac_f64_e32 v[2:3], v[6:7], v[8:9]
	global_store_dwordx2 v[0:1], v[2:3], off
                                        ; implicit-def: $vgpr0_vgpr1_vgpr2_vgpr3
                                        ; implicit-def: $vgpr8
                                        ; implicit-def: $vgpr9
                                        ; implicit-def: $vgpr0_vgpr1
.LBB3_45:
	s_andn2_saveexec_b64 s[2:3], s[2:3]
	s_cbranch_execz .LBB3_47
; %bb.46:
	v_mul_f64 v[2:3], v[4:5], v[2:3]
	v_mad_u64_u32 v[4:5], s[0:1], s0, v8, 0
	v_add3_u32 v5, v5, v9, v10
	v_lshl_add_u64 v[0:1], v[4:5], 3, v[0:1]
	global_store_dwordx2 v[0:1], v[2:3], off
.LBB3_47:
	s_endpgm
	.section	.rodata,"a",@progbits
	.p2align	6, 0x0
	.amdhsa_kernel _ZN9rocsparseL33gebsrmm_large_blockdim_kernel_extILi8ELi8ELi2EdEEv20rocsparse_direction_20rocsparse_operation_iiNS_24const_host_device_scalarIT2_EEPKiS7_PKS4_iiS9_lS5_PS4_l21rocsparse_index_base_b
		.amdhsa_group_segment_fixed_size 1536
		.amdhsa_private_segment_fixed_size 0
		.amdhsa_kernarg_size 104
		.amdhsa_user_sgpr_count 2
		.amdhsa_user_sgpr_dispatch_ptr 0
		.amdhsa_user_sgpr_queue_ptr 0
		.amdhsa_user_sgpr_kernarg_segment_ptr 1
		.amdhsa_user_sgpr_dispatch_id 0
		.amdhsa_user_sgpr_kernarg_preload_length 0
		.amdhsa_user_sgpr_kernarg_preload_offset 0
		.amdhsa_user_sgpr_private_segment_size 0
		.amdhsa_uses_dynamic_stack 0
		.amdhsa_enable_private_segment 0
		.amdhsa_system_sgpr_workgroup_id_x 1
		.amdhsa_system_sgpr_workgroup_id_y 1
		.amdhsa_system_sgpr_workgroup_id_z 0
		.amdhsa_system_sgpr_workgroup_info 0
		.amdhsa_system_vgpr_workitem_id 1
		.amdhsa_next_free_vgpr 29
		.amdhsa_next_free_sgpr 48
		.amdhsa_accum_offset 32
		.amdhsa_reserve_vcc 1
		.amdhsa_float_round_mode_32 0
		.amdhsa_float_round_mode_16_64 0
		.amdhsa_float_denorm_mode_32 3
		.amdhsa_float_denorm_mode_16_64 3
		.amdhsa_dx10_clamp 1
		.amdhsa_ieee_mode 1
		.amdhsa_fp16_overflow 0
		.amdhsa_tg_split 0
		.amdhsa_exception_fp_ieee_invalid_op 0
		.amdhsa_exception_fp_denorm_src 0
		.amdhsa_exception_fp_ieee_div_zero 0
		.amdhsa_exception_fp_ieee_overflow 0
		.amdhsa_exception_fp_ieee_underflow 0
		.amdhsa_exception_fp_ieee_inexact 0
		.amdhsa_exception_int_div_zero 0
	.end_amdhsa_kernel
	.section	.text._ZN9rocsparseL33gebsrmm_large_blockdim_kernel_extILi8ELi8ELi2EdEEv20rocsparse_direction_20rocsparse_operation_iiNS_24const_host_device_scalarIT2_EEPKiS7_PKS4_iiS9_lS5_PS4_l21rocsparse_index_base_b,"axG",@progbits,_ZN9rocsparseL33gebsrmm_large_blockdim_kernel_extILi8ELi8ELi2EdEEv20rocsparse_direction_20rocsparse_operation_iiNS_24const_host_device_scalarIT2_EEPKiS7_PKS4_iiS9_lS5_PS4_l21rocsparse_index_base_b,comdat
.Lfunc_end3:
	.size	_ZN9rocsparseL33gebsrmm_large_blockdim_kernel_extILi8ELi8ELi2EdEEv20rocsparse_direction_20rocsparse_operation_iiNS_24const_host_device_scalarIT2_EEPKiS7_PKS4_iiS9_lS5_PS4_l21rocsparse_index_base_b, .Lfunc_end3-_ZN9rocsparseL33gebsrmm_large_blockdim_kernel_extILi8ELi8ELi2EdEEv20rocsparse_direction_20rocsparse_operation_iiNS_24const_host_device_scalarIT2_EEPKiS7_PKS4_iiS9_lS5_PS4_l21rocsparse_index_base_b
                                        ; -- End function
	.set _ZN9rocsparseL33gebsrmm_large_blockdim_kernel_extILi8ELi8ELi2EdEEv20rocsparse_direction_20rocsparse_operation_iiNS_24const_host_device_scalarIT2_EEPKiS7_PKS4_iiS9_lS5_PS4_l21rocsparse_index_base_b.num_vgpr, 29
	.set _ZN9rocsparseL33gebsrmm_large_blockdim_kernel_extILi8ELi8ELi2EdEEv20rocsparse_direction_20rocsparse_operation_iiNS_24const_host_device_scalarIT2_EEPKiS7_PKS4_iiS9_lS5_PS4_l21rocsparse_index_base_b.num_agpr, 0
	.set _ZN9rocsparseL33gebsrmm_large_blockdim_kernel_extILi8ELi8ELi2EdEEv20rocsparse_direction_20rocsparse_operation_iiNS_24const_host_device_scalarIT2_EEPKiS7_PKS4_iiS9_lS5_PS4_l21rocsparse_index_base_b.numbered_sgpr, 48
	.set _ZN9rocsparseL33gebsrmm_large_blockdim_kernel_extILi8ELi8ELi2EdEEv20rocsparse_direction_20rocsparse_operation_iiNS_24const_host_device_scalarIT2_EEPKiS7_PKS4_iiS9_lS5_PS4_l21rocsparse_index_base_b.num_named_barrier, 0
	.set _ZN9rocsparseL33gebsrmm_large_blockdim_kernel_extILi8ELi8ELi2EdEEv20rocsparse_direction_20rocsparse_operation_iiNS_24const_host_device_scalarIT2_EEPKiS7_PKS4_iiS9_lS5_PS4_l21rocsparse_index_base_b.private_seg_size, 0
	.set _ZN9rocsparseL33gebsrmm_large_blockdim_kernel_extILi8ELi8ELi2EdEEv20rocsparse_direction_20rocsparse_operation_iiNS_24const_host_device_scalarIT2_EEPKiS7_PKS4_iiS9_lS5_PS4_l21rocsparse_index_base_b.uses_vcc, 1
	.set _ZN9rocsparseL33gebsrmm_large_blockdim_kernel_extILi8ELi8ELi2EdEEv20rocsparse_direction_20rocsparse_operation_iiNS_24const_host_device_scalarIT2_EEPKiS7_PKS4_iiS9_lS5_PS4_l21rocsparse_index_base_b.uses_flat_scratch, 0
	.set _ZN9rocsparseL33gebsrmm_large_blockdim_kernel_extILi8ELi8ELi2EdEEv20rocsparse_direction_20rocsparse_operation_iiNS_24const_host_device_scalarIT2_EEPKiS7_PKS4_iiS9_lS5_PS4_l21rocsparse_index_base_b.has_dyn_sized_stack, 0
	.set _ZN9rocsparseL33gebsrmm_large_blockdim_kernel_extILi8ELi8ELi2EdEEv20rocsparse_direction_20rocsparse_operation_iiNS_24const_host_device_scalarIT2_EEPKiS7_PKS4_iiS9_lS5_PS4_l21rocsparse_index_base_b.has_recursion, 0
	.set _ZN9rocsparseL33gebsrmm_large_blockdim_kernel_extILi8ELi8ELi2EdEEv20rocsparse_direction_20rocsparse_operation_iiNS_24const_host_device_scalarIT2_EEPKiS7_PKS4_iiS9_lS5_PS4_l21rocsparse_index_base_b.has_indirect_call, 0
	.section	.AMDGPU.csdata,"",@progbits
; Kernel info:
; codeLenInByte = 1420
; TotalNumSgprs: 54
; NumVgprs: 29
; NumAgprs: 0
; TotalNumVgprs: 29
; ScratchSize: 0
; MemoryBound: 0
; FloatMode: 240
; IeeeMode: 1
; LDSByteSize: 1536 bytes/workgroup (compile time only)
; SGPRBlocks: 6
; VGPRBlocks: 3
; NumSGPRsForWavesPerEU: 54
; NumVGPRsForWavesPerEU: 29
; AccumOffset: 32
; Occupancy: 8
; WaveLimiterHint : 1
; COMPUTE_PGM_RSRC2:SCRATCH_EN: 0
; COMPUTE_PGM_RSRC2:USER_SGPR: 2
; COMPUTE_PGM_RSRC2:TRAP_HANDLER: 0
; COMPUTE_PGM_RSRC2:TGID_X_EN: 1
; COMPUTE_PGM_RSRC2:TGID_Y_EN: 1
; COMPUTE_PGM_RSRC2:TGID_Z_EN: 0
; COMPUTE_PGM_RSRC2:TIDIG_COMP_CNT: 1
; COMPUTE_PGM_RSRC3_GFX90A:ACCUM_OFFSET: 7
; COMPUTE_PGM_RSRC3_GFX90A:TG_SPLIT: 0
	.section	.text._ZN9rocsparseL33gebsrmm_large_blockdim_kernel_extILi16ELi16ELi2EdEEv20rocsparse_direction_20rocsparse_operation_iiNS_24const_host_device_scalarIT2_EEPKiS7_PKS4_iiS9_lS5_PS4_l21rocsparse_index_base_b,"axG",@progbits,_ZN9rocsparseL33gebsrmm_large_blockdim_kernel_extILi16ELi16ELi2EdEEv20rocsparse_direction_20rocsparse_operation_iiNS_24const_host_device_scalarIT2_EEPKiS7_PKS4_iiS9_lS5_PS4_l21rocsparse_index_base_b,comdat
	.globl	_ZN9rocsparseL33gebsrmm_large_blockdim_kernel_extILi16ELi16ELi2EdEEv20rocsparse_direction_20rocsparse_operation_iiNS_24const_host_device_scalarIT2_EEPKiS7_PKS4_iiS9_lS5_PS4_l21rocsparse_index_base_b ; -- Begin function _ZN9rocsparseL33gebsrmm_large_blockdim_kernel_extILi16ELi16ELi2EdEEv20rocsparse_direction_20rocsparse_operation_iiNS_24const_host_device_scalarIT2_EEPKiS7_PKS4_iiS9_lS5_PS4_l21rocsparse_index_base_b
	.p2align	8
	.type	_ZN9rocsparseL33gebsrmm_large_blockdim_kernel_extILi16ELi16ELi2EdEEv20rocsparse_direction_20rocsparse_operation_iiNS_24const_host_device_scalarIT2_EEPKiS7_PKS4_iiS9_lS5_PS4_l21rocsparse_index_base_b,@function
_ZN9rocsparseL33gebsrmm_large_blockdim_kernel_extILi16ELi16ELi2EdEEv20rocsparse_direction_20rocsparse_operation_iiNS_24const_host_device_scalarIT2_EEPKiS7_PKS4_iiS9_lS5_PS4_l21rocsparse_index_base_b: ; @_ZN9rocsparseL33gebsrmm_large_blockdim_kernel_extILi16ELi16ELi2EdEEv20rocsparse_direction_20rocsparse_operation_iiNS_24const_host_device_scalarIT2_EEPKiS7_PKS4_iiS9_lS5_PS4_l21rocsparse_index_base_b
; %bb.0:
	s_load_dwordx2 s[24:25], s[0:1], 0x60
	s_load_dwordx2 s[6:7], s[0:1], 0x10
	s_load_dwordx4 s[16:19], s[0:1], 0x40
	s_waitcnt lgkmcnt(0)
	s_bitcmp1_b32 s25, 0
	s_cselect_b64 s[8:9], -1, 0
	s_xor_b64 s[4:5], s[8:9], -1
	s_and_b64 vcc, exec, s[8:9]
	v_mov_b64_e32 v[4:5], s[6:7]
	s_cbranch_vccnz .LBB4_2
; %bb.1:
	v_mov_b64_e32 v[2:3], s[6:7]
	flat_load_dwordx2 v[4:5], v[2:3]
.LBB4_2:
	s_andn2_b64 vcc, exec, s[4:5]
	v_mov_b64_e32 v[6:7], s[18:19]
	s_cbranch_vccnz .LBB4_4
; %bb.3:
	v_mov_b64_e32 v[2:3], s[18:19]
	flat_load_dwordx2 v[6:7], v[2:3]
.LBB4_4:
	s_waitcnt vmcnt(0) lgkmcnt(0)
	v_cmp_neq_f64_e32 vcc, 0, v[4:5]
	v_cmp_neq_f64_e64 s[4:5], 1.0, v[6:7]
	s_or_b64 s[4:5], vcc, s[4:5]
	s_and_saveexec_b64 s[6:7], s[4:5]
	s_cbranch_execz .LBB4_47
; %bb.5:
	s_load_dwordx4 s[12:15], s[0:1], 0x0
	s_mov_b32 s30, 0
	s_mov_b32 s25, 0
	s_waitcnt lgkmcnt(0)
	s_cmp_lt_i32 s2, s14
	s_cselect_b64 s[18:19], -1, 0
	s_cmp_ge_i32 s2, s14
	s_cbranch_scc1 .LBB4_7
; %bb.6:
	s_load_dwordx2 s[6:7], s[0:1], 0x18
	s_mov_b32 s4, s3
	s_ashr_i32 s3, s2, 31
	s_lshl_b64 s[8:9], s[2:3], 2
	s_mov_b32 s3, s4
	s_waitcnt lgkmcnt(0)
	s_add_u32 s4, s6, s8
	s_addc_u32 s5, s7, s9
	s_load_dwordx2 s[6:7], s[4:5], 0x0
	s_waitcnt lgkmcnt(0)
	s_sub_i32 s30, s6, s24
	s_sub_i32 s25, s7, s24
.LBB4_7:
	s_load_dwordx2 s[26:27], s[0:1], 0x50
	s_load_dwordx2 s[28:29], s[0:1], 0x30
	v_bfe_u32 v2, v0, 10, 10
	v_lshl_add_u32 v10, s3, 5, v2
	v_add_u32_e32 v8, 16, v10
	v_and_b32_e32 v0, 0x3ff, v0
	v_cmp_gt_i32_e64 s[6:7], s15, v10
	v_cmp_gt_i32_e64 s[4:5], s15, v8
	s_cmp_ge_i32 s30, s25
	s_waitcnt lgkmcnt(0)
	v_cmp_gt_i32_e64 s[8:9], s28, v0
	s_cbranch_scc1 .LBB4_35
; %bb.8:
	v_cmp_gt_i32_e32 vcc, s29, v2
	s_and_b64 s[34:35], s[8:9], vcc
	v_mov_b32_e32 v1, 0x1000
	s_load_dwordx4 s[20:23], s[0:1], 0x20
	s_load_dwordx2 s[14:15], s[0:1], 0x38
	v_lshl_add_u32 v18, v2, 3, v1
	s_cmpk_lg_i32 s13, 0x6f
	v_lshlrev_b32_e32 v1, 7, v2
	s_cselect_b64 s[40:41], -1, 0
	s_cmp_eq_u32 s12, 0
	v_mad_u64_u32 v[12:13], s[12:13], s28, v2, v[0:1]
	v_mad_u64_u32 v[2:3], s[12:13], s29, v0, v[2:3]
	v_ashrrev_i32_e32 v11, 31, v10
	s_cselect_b64 vcc, -1, 0
	s_cmp_gt_i32 s29, 0
	v_ashrrev_i32_e32 v9, 31, v8
	v_mul_lo_u32 v3, s17, v10
	v_mul_lo_u32 v13, s16, v11
	v_mad_u64_u32 v[14:15], s[36:37], s16, v10, 0
	v_lshlrev_b32_e32 v19, 3, v0
	v_lshlrev_b32_e32 v20, 7, v0
	s_cselect_b64 s[12:13], -1, 0
	v_add3_u32 v15, v15, v13, v3
	v_mul_lo_u32 v3, s17, v8
	v_mul_lo_u32 v13, s16, v9
	v_mad_u64_u32 v[16:17], s[36:37], s16, v8, 0
	v_cndmask_b32_e32 v24, v12, v2, vcc
	v_mov_b32_e32 v12, 0
	v_cndmask_b32_e64 v21, 0, 1, s[40:41]
	s_mul_i32 s3, s29, s28
	v_cmp_gt_i32_e64 s[10:11], s29, v0
	v_add3_u32 v17, v17, v13, v3
	s_and_b64 s[36:37], s[6:7], s[12:13]
	s_and_b64 s[38:39], s[4:5], s[12:13]
	v_add_u32_e32 v25, 0x1000, v20
	v_add_u32_e32 v26, 0x800, v1
	v_mov_b32_e32 v13, v12
	v_mov_b32_e32 v2, v12
	;; [unrolled: 1-line block ×3, first 2 shown]
	v_cmp_ne_u32_e64 s[12:13], 1, v21
	v_add_u32_e32 v27, v19, v1
	v_add_u32_e32 v28, v18, v20
	s_branch .LBB4_11
.LBB4_9:                                ;   in Loop: Header=BB4_11 Depth=1
	s_or_b64 exec, exec, s[42:43]
.LBB4_10:                               ;   in Loop: Header=BB4_11 Depth=1
	s_or_b64 exec, exec, s[40:41]
	s_add_i32 s30, s30, 1
	s_cmp_ge_i32 s30, s25
	s_barrier
	s_cbranch_scc1 .LBB4_36
.LBB4_11:                               ; =>This Loop Header: Depth=1
                                        ;     Child Loop BB4_31 Depth 2
                                        ;     Child Loop BB4_34 Depth 2
	s_and_saveexec_b64 s[40:41], s[10:11]
	s_cbranch_execz .LBB4_26
; %bb.12:                               ;   in Loop: Header=BB4_11 Depth=1
	s_ashr_i32 s31, s30, 31
	s_lshl_b64 s[42:43], s[30:31], 2
	s_waitcnt lgkmcnt(0)
	s_add_u32 s42, s20, s42
	s_addc_u32 s43, s21, s43
	s_load_dword s31, s[42:43], 0x0
	s_and_b64 vcc, exec, s[12:13]
	s_waitcnt lgkmcnt(0)
	s_sub_i32 s31, s31, s24
	s_mul_i32 s31, s31, s29
	v_add_u32_e32 v18, s31, v0
	v_ashrrev_i32_e32 v19, 31, v18
	s_cbranch_vccnz .LBB4_18
; %bb.13:                               ;   in Loop: Header=BB4_11 Depth=1
	v_mul_lo_u32 v22, s17, v18
	v_mul_lo_u32 v23, s16, v19
	v_mad_u64_u32 v[20:21], s[42:43], s16, v18, 0
	v_add3_u32 v21, v21, v23, v22
	v_lshl_add_u64 v[22:23], v[20:21], 3, s[14:15]
	s_and_saveexec_b64 s[42:43], s[6:7]
	s_cbranch_execz .LBB4_15
; %bb.14:                               ;   in Loop: Header=BB4_11 Depth=1
	v_lshl_add_u64 v[20:21], v[10:11], 3, v[22:23]
	global_load_dwordx2 v[20:21], v[20:21], off
	s_waitcnt vmcnt(0)
	ds_write_b64 v27, v[20:21]
.LBB4_15:                               ;   in Loop: Header=BB4_11 Depth=1
	s_or_b64 exec, exec, s[42:43]
	s_mov_b64 s[44:45], 0
	s_mov_b64 s[42:43], 0
                                        ; implicit-def: $vgpr20_vgpr21
	s_and_saveexec_b64 s[46:47], s[4:5]
	s_xor_b64 s[46:47], exec, s[46:47]
; %bb.16:                               ;   in Loop: Header=BB4_11 Depth=1
	s_mov_b64 s[42:43], exec
	v_lshl_add_u64 v[20:21], v[8:9], 3, v[22:23]
; %bb.17:                               ;   in Loop: Header=BB4_11 Depth=1
	s_or_b64 exec, exec, s[46:47]
	s_and_b64 vcc, exec, s[44:45]
	s_cbranch_vccnz .LBB4_19
	s_branch .LBB4_24
.LBB4_18:                               ;   in Loop: Header=BB4_11 Depth=1
	s_mov_b64 s[42:43], 0
                                        ; implicit-def: $vgpr20_vgpr21
	s_cbranch_execz .LBB4_24
.LBB4_19:                               ;   in Loop: Header=BB4_11 Depth=1
	v_lshl_add_u64 v[18:19], v[18:19], 3, s[14:15]
	s_and_saveexec_b64 s[44:45], s[6:7]
	s_cbranch_execz .LBB4_21
; %bb.20:                               ;   in Loop: Header=BB4_11 Depth=1
	v_lshl_add_u64 v[20:21], v[14:15], 3, v[18:19]
	global_load_dwordx2 v[20:21], v[20:21], off
	s_waitcnt vmcnt(0)
	ds_write_b64 v27, v[20:21]
.LBB4_21:                               ;   in Loop: Header=BB4_11 Depth=1
	s_or_b64 exec, exec, s[44:45]
                                        ; implicit-def: $vgpr20_vgpr21
	s_and_saveexec_b64 s[44:45], s[4:5]
; %bb.22:                               ;   in Loop: Header=BB4_11 Depth=1
	v_lshl_add_u64 v[20:21], v[16:17], 3, v[18:19]
	s_or_b64 s[42:43], s[42:43], exec
; %bb.23:                               ;   in Loop: Header=BB4_11 Depth=1
	s_or_b64 exec, exec, s[44:45]
.LBB4_24:                               ;   in Loop: Header=BB4_11 Depth=1
	s_and_b64 exec, exec, s[42:43]
	s_cbranch_execz .LBB4_26
; %bb.25:                               ;   in Loop: Header=BB4_11 Depth=1
	global_load_dwordx2 v[18:19], v[20:21], off
	s_waitcnt vmcnt(0)
	ds_write_b64 v27, v[18:19] offset:2048
.LBB4_26:                               ;   in Loop: Header=BB4_11 Depth=1
	s_or_b64 exec, exec, s[40:41]
	s_and_saveexec_b64 s[40:41], s[34:35]
	s_cbranch_execz .LBB4_28
; %bb.27:                               ;   in Loop: Header=BB4_11 Depth=1
	s_mul_i32 s31, s3, s30
	v_add_u32_e32 v18, s31, v24
	v_ashrrev_i32_e32 v19, 31, v18
	s_waitcnt lgkmcnt(0)
	v_lshl_add_u64 v[18:19], v[18:19], 3, s[22:23]
	global_load_dwordx2 v[18:19], v[18:19], off
	s_waitcnt vmcnt(0)
	ds_write_b64 v28, v[18:19]
.LBB4_28:                               ;   in Loop: Header=BB4_11 Depth=1
	s_or_b64 exec, exec, s[40:41]
	s_waitcnt lgkmcnt(0)
	s_barrier
	s_and_saveexec_b64 s[40:41], s[8:9]
	s_cbranch_execz .LBB4_10
; %bb.29:                               ;   in Loop: Header=BB4_11 Depth=1
	s_and_saveexec_b64 s[42:43], s[36:37]
	s_cbranch_execz .LBB4_32
; %bb.30:                               ;   in Loop: Header=BB4_11 Depth=1
	v_mov_b32_e32 v18, v25
	v_mov_b32_e32 v19, v1
	s_mov_b32 s31, s29
.LBB4_31:                               ;   Parent Loop BB4_11 Depth=1
                                        ; =>  This Inner Loop Header: Depth=2
	ds_read_b64 v[20:21], v18
	ds_read_b64 v[22:23], v19
	s_add_i32 s31, s31, -1
	v_add_u32_e32 v19, 8, v19
	v_add_u32_e32 v18, 8, v18
	s_cmp_lg_u32 s31, 0
	s_waitcnt lgkmcnt(0)
	v_fmac_f64_e32 v[12:13], v[20:21], v[22:23]
	s_cbranch_scc1 .LBB4_31
.LBB4_32:                               ;   in Loop: Header=BB4_11 Depth=1
	s_or_b64 exec, exec, s[42:43]
	s_and_saveexec_b64 s[42:43], s[38:39]
	s_cbranch_execz .LBB4_9
; %bb.33:                               ;   in Loop: Header=BB4_11 Depth=1
	v_mov_b32_e32 v18, v25
	s_mov_b32 s31, s29
	v_mov_b32_e32 v19, v26
.LBB4_34:                               ;   Parent Loop BB4_11 Depth=1
                                        ; =>  This Inner Loop Header: Depth=2
	ds_read_b64 v[20:21], v18
	ds_read_b64 v[22:23], v19
	s_add_i32 s31, s31, -1
	v_add_u32_e32 v19, 8, v19
	v_add_u32_e32 v18, 8, v18
	s_cmp_lg_u32 s31, 0
	s_waitcnt lgkmcnt(0)
	v_fmac_f64_e32 v[2:3], v[20:21], v[22:23]
	s_cbranch_scc1 .LBB4_34
	s_branch .LBB4_9
.LBB4_35:
	v_mov_b32_e32 v12, 0
	v_mov_b32_e32 v13, v12
	;; [unrolled: 1-line block ×4, first 2 shown]
.LBB4_36:
	s_and_b64 s[8:9], s[18:19], s[8:9]
	s_and_b64 exec, exec, s[8:9]
	s_cbranch_execz .LBB4_47
; %bb.37:
	s_load_dwordx2 s[0:1], s[0:1], 0x58
	s_mul_i32 s2, s28, s2
	v_add_u32_e32 v0, s2, v0
	v_ashrrev_i32_e32 v1, 31, v0
	v_cmp_neq_f64_e32 vcc, 0, v[6:7]
	v_lshl_add_u64 v[0:1], v[0:1], 3, s[26:27]
	s_and_saveexec_b64 s[2:3], s[6:7]
	s_cbranch_execz .LBB4_42
; %bb.38:
	v_ashrrev_i32_e32 v9, 31, v10
	s_waitcnt lgkmcnt(0)
	v_mul_lo_u32 v11, s1, v10
	v_mul_lo_u32 v9, s0, v9
	s_and_saveexec_b64 s[6:7], vcc
	s_xor_b64 s[6:7], exec, s[6:7]
	s_cbranch_execz .LBB4_40
; %bb.39:
	v_mad_u64_u32 v[14:15], s[8:9], s0, v10, 0
	v_add3_u32 v15, v15, v9, v11
	v_lshl_add_u64 v[10:11], v[14:15], 3, v[0:1]
	global_load_dwordx2 v[14:15], v[10:11], off
	v_mul_f64 v[16:17], v[4:5], v[12:13]
                                        ; implicit-def: $vgpr9
	s_waitcnt vmcnt(0)
	v_fmac_f64_e32 v[16:17], v[6:7], v[14:15]
	global_store_dwordx2 v[10:11], v[16:17], off
                                        ; implicit-def: $vgpr10
                                        ; implicit-def: $vgpr11
.LBB4_40:
	s_andn2_saveexec_b64 s[6:7], s[6:7]
	s_cbranch_execz .LBB4_42
; %bb.41:
	v_mad_u64_u32 v[14:15], s[6:7], s0, v10, 0
	v_add3_u32 v15, v15, v9, v11
	v_mul_f64 v[12:13], v[4:5], v[12:13]
	v_lshl_add_u64 v[10:11], v[14:15], 3, v[0:1]
	global_store_dwordx2 v[10:11], v[12:13], off
.LBB4_42:
	s_or_b64 exec, exec, s[2:3]
	s_and_b64 exec, exec, s[4:5]
	s_cbranch_execz .LBB4_47
; %bb.43:
	v_ashrrev_i32_e32 v9, 31, v8
	s_waitcnt lgkmcnt(0)
	v_mul_lo_u32 v10, s1, v8
	v_mul_lo_u32 v9, s0, v9
	s_and_saveexec_b64 s[2:3], vcc
	s_xor_b64 s[2:3], exec, s[2:3]
	s_cbranch_execz .LBB4_45
; %bb.44:
	v_mad_u64_u32 v[12:13], s[4:5], s0, v8, 0
	v_add3_u32 v13, v13, v9, v10
	v_lshl_add_u64 v[0:1], v[12:13], 3, v[0:1]
	global_load_dwordx2 v[8:9], v[0:1], off
	v_mul_f64 v[2:3], v[4:5], v[2:3]
                                        ; implicit-def: $vgpr4_vgpr5
                                        ; implicit-def: $vgpr10
	s_waitcnt vmcnt(0)
	v_fmac_f64_e32 v[2:3], v[6:7], v[8:9]
	global_store_dwordx2 v[0:1], v[2:3], off
                                        ; implicit-def: $vgpr0_vgpr1_vgpr2_vgpr3
                                        ; implicit-def: $vgpr8
                                        ; implicit-def: $vgpr9
                                        ; implicit-def: $vgpr0_vgpr1
.LBB4_45:
	s_andn2_saveexec_b64 s[2:3], s[2:3]
	s_cbranch_execz .LBB4_47
; %bb.46:
	v_mul_f64 v[2:3], v[4:5], v[2:3]
	v_mad_u64_u32 v[4:5], s[0:1], s0, v8, 0
	v_add3_u32 v5, v5, v9, v10
	v_lshl_add_u64 v[0:1], v[4:5], 3, v[0:1]
	global_store_dwordx2 v[0:1], v[2:3], off
.LBB4_47:
	s_endpgm
	.section	.rodata,"a",@progbits
	.p2align	6, 0x0
	.amdhsa_kernel _ZN9rocsparseL33gebsrmm_large_blockdim_kernel_extILi16ELi16ELi2EdEEv20rocsparse_direction_20rocsparse_operation_iiNS_24const_host_device_scalarIT2_EEPKiS7_PKS4_iiS9_lS5_PS4_l21rocsparse_index_base_b
		.amdhsa_group_segment_fixed_size 6144
		.amdhsa_private_segment_fixed_size 0
		.amdhsa_kernarg_size 104
		.amdhsa_user_sgpr_count 2
		.amdhsa_user_sgpr_dispatch_ptr 0
		.amdhsa_user_sgpr_queue_ptr 0
		.amdhsa_user_sgpr_kernarg_segment_ptr 1
		.amdhsa_user_sgpr_dispatch_id 0
		.amdhsa_user_sgpr_kernarg_preload_length 0
		.amdhsa_user_sgpr_kernarg_preload_offset 0
		.amdhsa_user_sgpr_private_segment_size 0
		.amdhsa_uses_dynamic_stack 0
		.amdhsa_enable_private_segment 0
		.amdhsa_system_sgpr_workgroup_id_x 1
		.amdhsa_system_sgpr_workgroup_id_y 1
		.amdhsa_system_sgpr_workgroup_id_z 0
		.amdhsa_system_sgpr_workgroup_info 0
		.amdhsa_system_vgpr_workitem_id 1
		.amdhsa_next_free_vgpr 29
		.amdhsa_next_free_sgpr 48
		.amdhsa_accum_offset 32
		.amdhsa_reserve_vcc 1
		.amdhsa_float_round_mode_32 0
		.amdhsa_float_round_mode_16_64 0
		.amdhsa_float_denorm_mode_32 3
		.amdhsa_float_denorm_mode_16_64 3
		.amdhsa_dx10_clamp 1
		.amdhsa_ieee_mode 1
		.amdhsa_fp16_overflow 0
		.amdhsa_tg_split 0
		.amdhsa_exception_fp_ieee_invalid_op 0
		.amdhsa_exception_fp_denorm_src 0
		.amdhsa_exception_fp_ieee_div_zero 0
		.amdhsa_exception_fp_ieee_overflow 0
		.amdhsa_exception_fp_ieee_underflow 0
		.amdhsa_exception_fp_ieee_inexact 0
		.amdhsa_exception_int_div_zero 0
	.end_amdhsa_kernel
	.section	.text._ZN9rocsparseL33gebsrmm_large_blockdim_kernel_extILi16ELi16ELi2EdEEv20rocsparse_direction_20rocsparse_operation_iiNS_24const_host_device_scalarIT2_EEPKiS7_PKS4_iiS9_lS5_PS4_l21rocsparse_index_base_b,"axG",@progbits,_ZN9rocsparseL33gebsrmm_large_blockdim_kernel_extILi16ELi16ELi2EdEEv20rocsparse_direction_20rocsparse_operation_iiNS_24const_host_device_scalarIT2_EEPKiS7_PKS4_iiS9_lS5_PS4_l21rocsparse_index_base_b,comdat
.Lfunc_end4:
	.size	_ZN9rocsparseL33gebsrmm_large_blockdim_kernel_extILi16ELi16ELi2EdEEv20rocsparse_direction_20rocsparse_operation_iiNS_24const_host_device_scalarIT2_EEPKiS7_PKS4_iiS9_lS5_PS4_l21rocsparse_index_base_b, .Lfunc_end4-_ZN9rocsparseL33gebsrmm_large_blockdim_kernel_extILi16ELi16ELi2EdEEv20rocsparse_direction_20rocsparse_operation_iiNS_24const_host_device_scalarIT2_EEPKiS7_PKS4_iiS9_lS5_PS4_l21rocsparse_index_base_b
                                        ; -- End function
	.set _ZN9rocsparseL33gebsrmm_large_blockdim_kernel_extILi16ELi16ELi2EdEEv20rocsparse_direction_20rocsparse_operation_iiNS_24const_host_device_scalarIT2_EEPKiS7_PKS4_iiS9_lS5_PS4_l21rocsparse_index_base_b.num_vgpr, 29
	.set _ZN9rocsparseL33gebsrmm_large_blockdim_kernel_extILi16ELi16ELi2EdEEv20rocsparse_direction_20rocsparse_operation_iiNS_24const_host_device_scalarIT2_EEPKiS7_PKS4_iiS9_lS5_PS4_l21rocsparse_index_base_b.num_agpr, 0
	.set _ZN9rocsparseL33gebsrmm_large_blockdim_kernel_extILi16ELi16ELi2EdEEv20rocsparse_direction_20rocsparse_operation_iiNS_24const_host_device_scalarIT2_EEPKiS7_PKS4_iiS9_lS5_PS4_l21rocsparse_index_base_b.numbered_sgpr, 48
	.set _ZN9rocsparseL33gebsrmm_large_blockdim_kernel_extILi16ELi16ELi2EdEEv20rocsparse_direction_20rocsparse_operation_iiNS_24const_host_device_scalarIT2_EEPKiS7_PKS4_iiS9_lS5_PS4_l21rocsparse_index_base_b.num_named_barrier, 0
	.set _ZN9rocsparseL33gebsrmm_large_blockdim_kernel_extILi16ELi16ELi2EdEEv20rocsparse_direction_20rocsparse_operation_iiNS_24const_host_device_scalarIT2_EEPKiS7_PKS4_iiS9_lS5_PS4_l21rocsparse_index_base_b.private_seg_size, 0
	.set _ZN9rocsparseL33gebsrmm_large_blockdim_kernel_extILi16ELi16ELi2EdEEv20rocsparse_direction_20rocsparse_operation_iiNS_24const_host_device_scalarIT2_EEPKiS7_PKS4_iiS9_lS5_PS4_l21rocsparse_index_base_b.uses_vcc, 1
	.set _ZN9rocsparseL33gebsrmm_large_blockdim_kernel_extILi16ELi16ELi2EdEEv20rocsparse_direction_20rocsparse_operation_iiNS_24const_host_device_scalarIT2_EEPKiS7_PKS4_iiS9_lS5_PS4_l21rocsparse_index_base_b.uses_flat_scratch, 0
	.set _ZN9rocsparseL33gebsrmm_large_blockdim_kernel_extILi16ELi16ELi2EdEEv20rocsparse_direction_20rocsparse_operation_iiNS_24const_host_device_scalarIT2_EEPKiS7_PKS4_iiS9_lS5_PS4_l21rocsparse_index_base_b.has_dyn_sized_stack, 0
	.set _ZN9rocsparseL33gebsrmm_large_blockdim_kernel_extILi16ELi16ELi2EdEEv20rocsparse_direction_20rocsparse_operation_iiNS_24const_host_device_scalarIT2_EEPKiS7_PKS4_iiS9_lS5_PS4_l21rocsparse_index_base_b.has_recursion, 0
	.set _ZN9rocsparseL33gebsrmm_large_blockdim_kernel_extILi16ELi16ELi2EdEEv20rocsparse_direction_20rocsparse_operation_iiNS_24const_host_device_scalarIT2_EEPKiS7_PKS4_iiS9_lS5_PS4_l21rocsparse_index_base_b.has_indirect_call, 0
	.section	.AMDGPU.csdata,"",@progbits
; Kernel info:
; codeLenInByte = 1428
; TotalNumSgprs: 54
; NumVgprs: 29
; NumAgprs: 0
; TotalNumVgprs: 29
; ScratchSize: 0
; MemoryBound: 0
; FloatMode: 240
; IeeeMode: 1
; LDSByteSize: 6144 bytes/workgroup (compile time only)
; SGPRBlocks: 6
; VGPRBlocks: 3
; NumSGPRsForWavesPerEU: 54
; NumVGPRsForWavesPerEU: 29
; AccumOffset: 32
; Occupancy: 8
; WaveLimiterHint : 1
; COMPUTE_PGM_RSRC2:SCRATCH_EN: 0
; COMPUTE_PGM_RSRC2:USER_SGPR: 2
; COMPUTE_PGM_RSRC2:TRAP_HANDLER: 0
; COMPUTE_PGM_RSRC2:TGID_X_EN: 1
; COMPUTE_PGM_RSRC2:TGID_Y_EN: 1
; COMPUTE_PGM_RSRC2:TGID_Z_EN: 0
; COMPUTE_PGM_RSRC2:TIDIG_COMP_CNT: 1
; COMPUTE_PGM_RSRC3_GFX90A:ACCUM_OFFSET: 7
; COMPUTE_PGM_RSRC3_GFX90A:TG_SPLIT: 0
	.section	.text._ZN9rocsparseL33gebsrmm_large_blockdim_kernel_extILi32ELi32ELi2EdEEv20rocsparse_direction_20rocsparse_operation_iiNS_24const_host_device_scalarIT2_EEPKiS7_PKS4_iiS9_lS5_PS4_l21rocsparse_index_base_b,"axG",@progbits,_ZN9rocsparseL33gebsrmm_large_blockdim_kernel_extILi32ELi32ELi2EdEEv20rocsparse_direction_20rocsparse_operation_iiNS_24const_host_device_scalarIT2_EEPKiS7_PKS4_iiS9_lS5_PS4_l21rocsparse_index_base_b,comdat
	.globl	_ZN9rocsparseL33gebsrmm_large_blockdim_kernel_extILi32ELi32ELi2EdEEv20rocsparse_direction_20rocsparse_operation_iiNS_24const_host_device_scalarIT2_EEPKiS7_PKS4_iiS9_lS5_PS4_l21rocsparse_index_base_b ; -- Begin function _ZN9rocsparseL33gebsrmm_large_blockdim_kernel_extILi32ELi32ELi2EdEEv20rocsparse_direction_20rocsparse_operation_iiNS_24const_host_device_scalarIT2_EEPKiS7_PKS4_iiS9_lS5_PS4_l21rocsparse_index_base_b
	.p2align	8
	.type	_ZN9rocsparseL33gebsrmm_large_blockdim_kernel_extILi32ELi32ELi2EdEEv20rocsparse_direction_20rocsparse_operation_iiNS_24const_host_device_scalarIT2_EEPKiS7_PKS4_iiS9_lS5_PS4_l21rocsparse_index_base_b,@function
_ZN9rocsparseL33gebsrmm_large_blockdim_kernel_extILi32ELi32ELi2EdEEv20rocsparse_direction_20rocsparse_operation_iiNS_24const_host_device_scalarIT2_EEPKiS7_PKS4_iiS9_lS5_PS4_l21rocsparse_index_base_b: ; @_ZN9rocsparseL33gebsrmm_large_blockdim_kernel_extILi32ELi32ELi2EdEEv20rocsparse_direction_20rocsparse_operation_iiNS_24const_host_device_scalarIT2_EEPKiS7_PKS4_iiS9_lS5_PS4_l21rocsparse_index_base_b
; %bb.0:
	s_load_dwordx2 s[24:25], s[0:1], 0x60
	s_load_dwordx2 s[6:7], s[0:1], 0x10
	s_load_dwordx4 s[16:19], s[0:1], 0x40
	s_waitcnt lgkmcnt(0)
	s_bitcmp1_b32 s25, 0
	s_cselect_b64 s[8:9], -1, 0
	s_xor_b64 s[4:5], s[8:9], -1
	s_and_b64 vcc, exec, s[8:9]
	v_mov_b64_e32 v[4:5], s[6:7]
	s_cbranch_vccnz .LBB5_2
; %bb.1:
	v_mov_b64_e32 v[2:3], s[6:7]
	flat_load_dwordx2 v[4:5], v[2:3]
.LBB5_2:
	s_andn2_b64 vcc, exec, s[4:5]
	v_mov_b64_e32 v[6:7], s[18:19]
	s_cbranch_vccnz .LBB5_4
; %bb.3:
	v_mov_b64_e32 v[2:3], s[18:19]
	flat_load_dwordx2 v[6:7], v[2:3]
.LBB5_4:
	s_waitcnt vmcnt(0) lgkmcnt(0)
	v_cmp_neq_f64_e32 vcc, 0, v[4:5]
	v_cmp_neq_f64_e64 s[4:5], 1.0, v[6:7]
	s_or_b64 s[4:5], vcc, s[4:5]
	s_and_saveexec_b64 s[6:7], s[4:5]
	s_cbranch_execz .LBB5_47
; %bb.5:
	s_load_dwordx4 s[12:15], s[0:1], 0x0
	s_mov_b32 s30, 0
	s_mov_b32 s25, 0
	s_waitcnt lgkmcnt(0)
	s_cmp_lt_i32 s2, s14
	s_cselect_b64 s[18:19], -1, 0
	s_cmp_ge_i32 s2, s14
	s_cbranch_scc1 .LBB5_7
; %bb.6:
	s_load_dwordx2 s[6:7], s[0:1], 0x18
	s_mov_b32 s4, s3
	s_ashr_i32 s3, s2, 31
	s_lshl_b64 s[8:9], s[2:3], 2
	s_mov_b32 s3, s4
	s_waitcnt lgkmcnt(0)
	s_add_u32 s4, s6, s8
	s_addc_u32 s5, s7, s9
	s_load_dwordx2 s[6:7], s[4:5], 0x0
	s_waitcnt lgkmcnt(0)
	s_sub_i32 s30, s6, s24
	s_sub_i32 s25, s7, s24
.LBB5_7:
	s_load_dwordx2 s[26:27], s[0:1], 0x50
	s_load_dwordx2 s[28:29], s[0:1], 0x30
	v_bfe_u32 v2, v0, 10, 10
	v_lshl_add_u32 v10, s3, 6, v2
	v_add_u32_e32 v8, 32, v10
	v_and_b32_e32 v0, 0x3ff, v0
	v_cmp_gt_i32_e64 s[6:7], s15, v10
	v_cmp_gt_i32_e64 s[4:5], s15, v8
	s_cmp_ge_i32 s30, s25
	s_waitcnt lgkmcnt(0)
	v_cmp_gt_i32_e64 s[8:9], s28, v0
	s_cbranch_scc1 .LBB5_35
; %bb.8:
	v_cmp_gt_i32_e32 vcc, s29, v2
	s_and_b64 s[34:35], s[8:9], vcc
	v_mov_b32_e32 v1, 0x4000
	s_load_dwordx4 s[20:23], s[0:1], 0x20
	s_load_dwordx2 s[14:15], s[0:1], 0x38
	v_lshl_or_b32 v18, v2, 3, v1
	s_cmpk_lg_i32 s13, 0x6f
	v_lshlrev_b32_e32 v1, 8, v2
	s_cselect_b64 s[40:41], -1, 0
	s_cmp_eq_u32 s12, 0
	v_mad_u64_u32 v[12:13], s[12:13], s28, v2, v[0:1]
	v_mad_u64_u32 v[2:3], s[12:13], s29, v0, v[2:3]
	v_ashrrev_i32_e32 v11, 31, v10
	s_cselect_b64 vcc, -1, 0
	s_cmp_gt_i32 s29, 0
	v_ashrrev_i32_e32 v9, 31, v8
	v_mul_lo_u32 v3, s17, v10
	v_mul_lo_u32 v13, s16, v11
	v_mad_u64_u32 v[14:15], s[36:37], s16, v10, 0
	v_lshlrev_b32_e32 v19, 3, v0
	v_lshlrev_b32_e32 v20, 8, v0
	s_cselect_b64 s[12:13], -1, 0
	v_add3_u32 v15, v15, v13, v3
	v_mul_lo_u32 v3, s17, v8
	v_mul_lo_u32 v13, s16, v9
	v_mad_u64_u32 v[16:17], s[36:37], s16, v8, 0
	v_cndmask_b32_e32 v24, v12, v2, vcc
	v_mov_b32_e32 v12, 0
	v_cndmask_b32_e64 v21, 0, 1, s[40:41]
	s_mul_i32 s3, s29, s28
	v_cmp_gt_i32_e64 s[10:11], s29, v0
	v_add3_u32 v17, v17, v13, v3
	s_and_b64 s[36:37], s[6:7], s[12:13]
	s_and_b64 s[38:39], s[4:5], s[12:13]
	v_add_u32_e32 v25, 0x4000, v20
	v_add_u32_e32 v26, 0x2000, v1
	v_mov_b32_e32 v13, v12
	v_mov_b32_e32 v2, v12
	;; [unrolled: 1-line block ×3, first 2 shown]
	v_cmp_ne_u32_e64 s[12:13], 1, v21
	v_add_u32_e32 v27, v19, v1
	v_add_u32_e32 v28, v18, v20
	s_branch .LBB5_11
.LBB5_9:                                ;   in Loop: Header=BB5_11 Depth=1
	s_or_b64 exec, exec, s[42:43]
.LBB5_10:                               ;   in Loop: Header=BB5_11 Depth=1
	s_or_b64 exec, exec, s[40:41]
	s_add_i32 s30, s30, 1
	s_cmp_ge_i32 s30, s25
	s_barrier
	s_cbranch_scc1 .LBB5_36
.LBB5_11:                               ; =>This Loop Header: Depth=1
                                        ;     Child Loop BB5_31 Depth 2
                                        ;     Child Loop BB5_34 Depth 2
	s_and_saveexec_b64 s[40:41], s[10:11]
	s_cbranch_execz .LBB5_26
; %bb.12:                               ;   in Loop: Header=BB5_11 Depth=1
	s_ashr_i32 s31, s30, 31
	s_lshl_b64 s[42:43], s[30:31], 2
	s_waitcnt lgkmcnt(0)
	s_add_u32 s42, s20, s42
	s_addc_u32 s43, s21, s43
	s_load_dword s31, s[42:43], 0x0
	s_and_b64 vcc, exec, s[12:13]
	s_waitcnt lgkmcnt(0)
	s_sub_i32 s31, s31, s24
	s_mul_i32 s31, s31, s29
	v_add_u32_e32 v18, s31, v0
	v_ashrrev_i32_e32 v19, 31, v18
	s_cbranch_vccnz .LBB5_18
; %bb.13:                               ;   in Loop: Header=BB5_11 Depth=1
	v_mul_lo_u32 v22, s17, v18
	v_mul_lo_u32 v23, s16, v19
	v_mad_u64_u32 v[20:21], s[42:43], s16, v18, 0
	v_add3_u32 v21, v21, v23, v22
	v_lshl_add_u64 v[22:23], v[20:21], 3, s[14:15]
	s_and_saveexec_b64 s[42:43], s[6:7]
	s_cbranch_execz .LBB5_15
; %bb.14:                               ;   in Loop: Header=BB5_11 Depth=1
	v_lshl_add_u64 v[20:21], v[10:11], 3, v[22:23]
	global_load_dwordx2 v[20:21], v[20:21], off
	s_waitcnt vmcnt(0)
	ds_write_b64 v27, v[20:21]
.LBB5_15:                               ;   in Loop: Header=BB5_11 Depth=1
	s_or_b64 exec, exec, s[42:43]
	s_mov_b64 s[44:45], 0
	s_mov_b64 s[42:43], 0
                                        ; implicit-def: $vgpr20_vgpr21
	s_and_saveexec_b64 s[46:47], s[4:5]
	s_xor_b64 s[46:47], exec, s[46:47]
; %bb.16:                               ;   in Loop: Header=BB5_11 Depth=1
	s_mov_b64 s[42:43], exec
	v_lshl_add_u64 v[20:21], v[8:9], 3, v[22:23]
; %bb.17:                               ;   in Loop: Header=BB5_11 Depth=1
	s_or_b64 exec, exec, s[46:47]
	s_and_b64 vcc, exec, s[44:45]
	s_cbranch_vccnz .LBB5_19
	s_branch .LBB5_24
.LBB5_18:                               ;   in Loop: Header=BB5_11 Depth=1
	s_mov_b64 s[42:43], 0
                                        ; implicit-def: $vgpr20_vgpr21
	s_cbranch_execz .LBB5_24
.LBB5_19:                               ;   in Loop: Header=BB5_11 Depth=1
	v_lshl_add_u64 v[18:19], v[18:19], 3, s[14:15]
	s_and_saveexec_b64 s[44:45], s[6:7]
	s_cbranch_execz .LBB5_21
; %bb.20:                               ;   in Loop: Header=BB5_11 Depth=1
	v_lshl_add_u64 v[20:21], v[14:15], 3, v[18:19]
	global_load_dwordx2 v[20:21], v[20:21], off
	s_waitcnt vmcnt(0)
	ds_write_b64 v27, v[20:21]
.LBB5_21:                               ;   in Loop: Header=BB5_11 Depth=1
	s_or_b64 exec, exec, s[44:45]
                                        ; implicit-def: $vgpr20_vgpr21
	s_and_saveexec_b64 s[44:45], s[4:5]
; %bb.22:                               ;   in Loop: Header=BB5_11 Depth=1
	v_lshl_add_u64 v[20:21], v[16:17], 3, v[18:19]
	s_or_b64 s[42:43], s[42:43], exec
; %bb.23:                               ;   in Loop: Header=BB5_11 Depth=1
	s_or_b64 exec, exec, s[44:45]
.LBB5_24:                               ;   in Loop: Header=BB5_11 Depth=1
	s_and_b64 exec, exec, s[42:43]
	s_cbranch_execz .LBB5_26
; %bb.25:                               ;   in Loop: Header=BB5_11 Depth=1
	global_load_dwordx2 v[18:19], v[20:21], off
	s_waitcnt vmcnt(0)
	ds_write_b64 v27, v[18:19] offset:8192
.LBB5_26:                               ;   in Loop: Header=BB5_11 Depth=1
	s_or_b64 exec, exec, s[40:41]
	s_and_saveexec_b64 s[40:41], s[34:35]
	s_cbranch_execz .LBB5_28
; %bb.27:                               ;   in Loop: Header=BB5_11 Depth=1
	s_mul_i32 s31, s3, s30
	v_add_u32_e32 v18, s31, v24
	v_ashrrev_i32_e32 v19, 31, v18
	s_waitcnt lgkmcnt(0)
	v_lshl_add_u64 v[18:19], v[18:19], 3, s[22:23]
	global_load_dwordx2 v[18:19], v[18:19], off
	s_waitcnt vmcnt(0)
	ds_write_b64 v28, v[18:19]
.LBB5_28:                               ;   in Loop: Header=BB5_11 Depth=1
	s_or_b64 exec, exec, s[40:41]
	s_waitcnt lgkmcnt(0)
	s_barrier
	s_and_saveexec_b64 s[40:41], s[8:9]
	s_cbranch_execz .LBB5_10
; %bb.29:                               ;   in Loop: Header=BB5_11 Depth=1
	s_and_saveexec_b64 s[42:43], s[36:37]
	s_cbranch_execz .LBB5_32
; %bb.30:                               ;   in Loop: Header=BB5_11 Depth=1
	v_mov_b32_e32 v18, v25
	v_mov_b32_e32 v19, v1
	s_mov_b32 s31, s29
.LBB5_31:                               ;   Parent Loop BB5_11 Depth=1
                                        ; =>  This Inner Loop Header: Depth=2
	ds_read_b64 v[20:21], v18
	ds_read_b64 v[22:23], v19
	s_add_i32 s31, s31, -1
	v_add_u32_e32 v19, 8, v19
	v_add_u32_e32 v18, 8, v18
	s_cmp_lg_u32 s31, 0
	s_waitcnt lgkmcnt(0)
	v_fmac_f64_e32 v[12:13], v[20:21], v[22:23]
	s_cbranch_scc1 .LBB5_31
.LBB5_32:                               ;   in Loop: Header=BB5_11 Depth=1
	s_or_b64 exec, exec, s[42:43]
	s_and_saveexec_b64 s[42:43], s[38:39]
	s_cbranch_execz .LBB5_9
; %bb.33:                               ;   in Loop: Header=BB5_11 Depth=1
	v_mov_b32_e32 v18, v25
	s_mov_b32 s31, s29
	v_mov_b32_e32 v19, v26
.LBB5_34:                               ;   Parent Loop BB5_11 Depth=1
                                        ; =>  This Inner Loop Header: Depth=2
	ds_read_b64 v[20:21], v18
	ds_read_b64 v[22:23], v19
	s_add_i32 s31, s31, -1
	v_add_u32_e32 v19, 8, v19
	v_add_u32_e32 v18, 8, v18
	s_cmp_lg_u32 s31, 0
	s_waitcnt lgkmcnt(0)
	v_fmac_f64_e32 v[2:3], v[20:21], v[22:23]
	s_cbranch_scc1 .LBB5_34
	s_branch .LBB5_9
.LBB5_35:
	v_mov_b32_e32 v12, 0
	v_mov_b32_e32 v13, v12
	;; [unrolled: 1-line block ×4, first 2 shown]
.LBB5_36:
	s_and_b64 s[8:9], s[18:19], s[8:9]
	s_and_b64 exec, exec, s[8:9]
	s_cbranch_execz .LBB5_47
; %bb.37:
	s_load_dwordx2 s[0:1], s[0:1], 0x58
	s_mul_i32 s2, s28, s2
	v_add_u32_e32 v0, s2, v0
	v_ashrrev_i32_e32 v1, 31, v0
	v_cmp_neq_f64_e32 vcc, 0, v[6:7]
	v_lshl_add_u64 v[0:1], v[0:1], 3, s[26:27]
	s_and_saveexec_b64 s[2:3], s[6:7]
	s_cbranch_execz .LBB5_42
; %bb.38:
	v_ashrrev_i32_e32 v9, 31, v10
	s_waitcnt lgkmcnt(0)
	v_mul_lo_u32 v11, s1, v10
	v_mul_lo_u32 v9, s0, v9
	s_and_saveexec_b64 s[6:7], vcc
	s_xor_b64 s[6:7], exec, s[6:7]
	s_cbranch_execz .LBB5_40
; %bb.39:
	v_mad_u64_u32 v[14:15], s[8:9], s0, v10, 0
	v_add3_u32 v15, v15, v9, v11
	v_lshl_add_u64 v[10:11], v[14:15], 3, v[0:1]
	global_load_dwordx2 v[14:15], v[10:11], off
	v_mul_f64 v[16:17], v[4:5], v[12:13]
                                        ; implicit-def: $vgpr9
	s_waitcnt vmcnt(0)
	v_fmac_f64_e32 v[16:17], v[6:7], v[14:15]
	global_store_dwordx2 v[10:11], v[16:17], off
                                        ; implicit-def: $vgpr10
                                        ; implicit-def: $vgpr11
.LBB5_40:
	s_andn2_saveexec_b64 s[6:7], s[6:7]
	s_cbranch_execz .LBB5_42
; %bb.41:
	v_mad_u64_u32 v[14:15], s[6:7], s0, v10, 0
	v_add3_u32 v15, v15, v9, v11
	v_mul_f64 v[12:13], v[4:5], v[12:13]
	v_lshl_add_u64 v[10:11], v[14:15], 3, v[0:1]
	global_store_dwordx2 v[10:11], v[12:13], off
.LBB5_42:
	s_or_b64 exec, exec, s[2:3]
	s_and_b64 exec, exec, s[4:5]
	s_cbranch_execz .LBB5_47
; %bb.43:
	v_ashrrev_i32_e32 v9, 31, v8
	s_waitcnt lgkmcnt(0)
	v_mul_lo_u32 v10, s1, v8
	v_mul_lo_u32 v9, s0, v9
	s_and_saveexec_b64 s[2:3], vcc
	s_xor_b64 s[2:3], exec, s[2:3]
	s_cbranch_execz .LBB5_45
; %bb.44:
	v_mad_u64_u32 v[12:13], s[4:5], s0, v8, 0
	v_add3_u32 v13, v13, v9, v10
	v_lshl_add_u64 v[0:1], v[12:13], 3, v[0:1]
	global_load_dwordx2 v[8:9], v[0:1], off
	v_mul_f64 v[2:3], v[4:5], v[2:3]
                                        ; implicit-def: $vgpr4_vgpr5
                                        ; implicit-def: $vgpr10
	s_waitcnt vmcnt(0)
	v_fmac_f64_e32 v[2:3], v[6:7], v[8:9]
	global_store_dwordx2 v[0:1], v[2:3], off
                                        ; implicit-def: $vgpr0_vgpr1_vgpr2_vgpr3
                                        ; implicit-def: $vgpr8
                                        ; implicit-def: $vgpr9
                                        ; implicit-def: $vgpr0_vgpr1
.LBB5_45:
	s_andn2_saveexec_b64 s[2:3], s[2:3]
	s_cbranch_execz .LBB5_47
; %bb.46:
	v_mul_f64 v[2:3], v[4:5], v[2:3]
	v_mad_u64_u32 v[4:5], s[0:1], s0, v8, 0
	v_add3_u32 v5, v5, v9, v10
	v_lshl_add_u64 v[0:1], v[4:5], 3, v[0:1]
	global_store_dwordx2 v[0:1], v[2:3], off
.LBB5_47:
	s_endpgm
	.section	.rodata,"a",@progbits
	.p2align	6, 0x0
	.amdhsa_kernel _ZN9rocsparseL33gebsrmm_large_blockdim_kernel_extILi32ELi32ELi2EdEEv20rocsparse_direction_20rocsparse_operation_iiNS_24const_host_device_scalarIT2_EEPKiS7_PKS4_iiS9_lS5_PS4_l21rocsparse_index_base_b
		.amdhsa_group_segment_fixed_size 24576
		.amdhsa_private_segment_fixed_size 0
		.amdhsa_kernarg_size 104
		.amdhsa_user_sgpr_count 2
		.amdhsa_user_sgpr_dispatch_ptr 0
		.amdhsa_user_sgpr_queue_ptr 0
		.amdhsa_user_sgpr_kernarg_segment_ptr 1
		.amdhsa_user_sgpr_dispatch_id 0
		.amdhsa_user_sgpr_kernarg_preload_length 0
		.amdhsa_user_sgpr_kernarg_preload_offset 0
		.amdhsa_user_sgpr_private_segment_size 0
		.amdhsa_uses_dynamic_stack 0
		.amdhsa_enable_private_segment 0
		.amdhsa_system_sgpr_workgroup_id_x 1
		.amdhsa_system_sgpr_workgroup_id_y 1
		.amdhsa_system_sgpr_workgroup_id_z 0
		.amdhsa_system_sgpr_workgroup_info 0
		.amdhsa_system_vgpr_workitem_id 1
		.amdhsa_next_free_vgpr 29
		.amdhsa_next_free_sgpr 48
		.amdhsa_accum_offset 32
		.amdhsa_reserve_vcc 1
		.amdhsa_float_round_mode_32 0
		.amdhsa_float_round_mode_16_64 0
		.amdhsa_float_denorm_mode_32 3
		.amdhsa_float_denorm_mode_16_64 3
		.amdhsa_dx10_clamp 1
		.amdhsa_ieee_mode 1
		.amdhsa_fp16_overflow 0
		.amdhsa_tg_split 0
		.amdhsa_exception_fp_ieee_invalid_op 0
		.amdhsa_exception_fp_denorm_src 0
		.amdhsa_exception_fp_ieee_div_zero 0
		.amdhsa_exception_fp_ieee_overflow 0
		.amdhsa_exception_fp_ieee_underflow 0
		.amdhsa_exception_fp_ieee_inexact 0
		.amdhsa_exception_int_div_zero 0
	.end_amdhsa_kernel
	.section	.text._ZN9rocsparseL33gebsrmm_large_blockdim_kernel_extILi32ELi32ELi2EdEEv20rocsparse_direction_20rocsparse_operation_iiNS_24const_host_device_scalarIT2_EEPKiS7_PKS4_iiS9_lS5_PS4_l21rocsparse_index_base_b,"axG",@progbits,_ZN9rocsparseL33gebsrmm_large_blockdim_kernel_extILi32ELi32ELi2EdEEv20rocsparse_direction_20rocsparse_operation_iiNS_24const_host_device_scalarIT2_EEPKiS7_PKS4_iiS9_lS5_PS4_l21rocsparse_index_base_b,comdat
.Lfunc_end5:
	.size	_ZN9rocsparseL33gebsrmm_large_blockdim_kernel_extILi32ELi32ELi2EdEEv20rocsparse_direction_20rocsparse_operation_iiNS_24const_host_device_scalarIT2_EEPKiS7_PKS4_iiS9_lS5_PS4_l21rocsparse_index_base_b, .Lfunc_end5-_ZN9rocsparseL33gebsrmm_large_blockdim_kernel_extILi32ELi32ELi2EdEEv20rocsparse_direction_20rocsparse_operation_iiNS_24const_host_device_scalarIT2_EEPKiS7_PKS4_iiS9_lS5_PS4_l21rocsparse_index_base_b
                                        ; -- End function
	.set _ZN9rocsparseL33gebsrmm_large_blockdim_kernel_extILi32ELi32ELi2EdEEv20rocsparse_direction_20rocsparse_operation_iiNS_24const_host_device_scalarIT2_EEPKiS7_PKS4_iiS9_lS5_PS4_l21rocsparse_index_base_b.num_vgpr, 29
	.set _ZN9rocsparseL33gebsrmm_large_blockdim_kernel_extILi32ELi32ELi2EdEEv20rocsparse_direction_20rocsparse_operation_iiNS_24const_host_device_scalarIT2_EEPKiS7_PKS4_iiS9_lS5_PS4_l21rocsparse_index_base_b.num_agpr, 0
	.set _ZN9rocsparseL33gebsrmm_large_blockdim_kernel_extILi32ELi32ELi2EdEEv20rocsparse_direction_20rocsparse_operation_iiNS_24const_host_device_scalarIT2_EEPKiS7_PKS4_iiS9_lS5_PS4_l21rocsparse_index_base_b.numbered_sgpr, 48
	.set _ZN9rocsparseL33gebsrmm_large_blockdim_kernel_extILi32ELi32ELi2EdEEv20rocsparse_direction_20rocsparse_operation_iiNS_24const_host_device_scalarIT2_EEPKiS7_PKS4_iiS9_lS5_PS4_l21rocsparse_index_base_b.num_named_barrier, 0
	.set _ZN9rocsparseL33gebsrmm_large_blockdim_kernel_extILi32ELi32ELi2EdEEv20rocsparse_direction_20rocsparse_operation_iiNS_24const_host_device_scalarIT2_EEPKiS7_PKS4_iiS9_lS5_PS4_l21rocsparse_index_base_b.private_seg_size, 0
	.set _ZN9rocsparseL33gebsrmm_large_blockdim_kernel_extILi32ELi32ELi2EdEEv20rocsparse_direction_20rocsparse_operation_iiNS_24const_host_device_scalarIT2_EEPKiS7_PKS4_iiS9_lS5_PS4_l21rocsparse_index_base_b.uses_vcc, 1
	.set _ZN9rocsparseL33gebsrmm_large_blockdim_kernel_extILi32ELi32ELi2EdEEv20rocsparse_direction_20rocsparse_operation_iiNS_24const_host_device_scalarIT2_EEPKiS7_PKS4_iiS9_lS5_PS4_l21rocsparse_index_base_b.uses_flat_scratch, 0
	.set _ZN9rocsparseL33gebsrmm_large_blockdim_kernel_extILi32ELi32ELi2EdEEv20rocsparse_direction_20rocsparse_operation_iiNS_24const_host_device_scalarIT2_EEPKiS7_PKS4_iiS9_lS5_PS4_l21rocsparse_index_base_b.has_dyn_sized_stack, 0
	.set _ZN9rocsparseL33gebsrmm_large_blockdim_kernel_extILi32ELi32ELi2EdEEv20rocsparse_direction_20rocsparse_operation_iiNS_24const_host_device_scalarIT2_EEPKiS7_PKS4_iiS9_lS5_PS4_l21rocsparse_index_base_b.has_recursion, 0
	.set _ZN9rocsparseL33gebsrmm_large_blockdim_kernel_extILi32ELi32ELi2EdEEv20rocsparse_direction_20rocsparse_operation_iiNS_24const_host_device_scalarIT2_EEPKiS7_PKS4_iiS9_lS5_PS4_l21rocsparse_index_base_b.has_indirect_call, 0
	.section	.AMDGPU.csdata,"",@progbits
; Kernel info:
; codeLenInByte = 1428
; TotalNumSgprs: 54
; NumVgprs: 29
; NumAgprs: 0
; TotalNumVgprs: 29
; ScratchSize: 0
; MemoryBound: 0
; FloatMode: 240
; IeeeMode: 1
; LDSByteSize: 24576 bytes/workgroup (compile time only)
; SGPRBlocks: 6
; VGPRBlocks: 3
; NumSGPRsForWavesPerEU: 54
; NumVGPRsForWavesPerEU: 29
; AccumOffset: 32
; Occupancy: 8
; WaveLimiterHint : 1
; COMPUTE_PGM_RSRC2:SCRATCH_EN: 0
; COMPUTE_PGM_RSRC2:USER_SGPR: 2
; COMPUTE_PGM_RSRC2:TRAP_HANDLER: 0
; COMPUTE_PGM_RSRC2:TGID_X_EN: 1
; COMPUTE_PGM_RSRC2:TGID_Y_EN: 1
; COMPUTE_PGM_RSRC2:TGID_Z_EN: 0
; COMPUTE_PGM_RSRC2:TIDIG_COMP_CNT: 1
; COMPUTE_PGM_RSRC3_GFX90A:ACCUM_OFFSET: 7
; COMPUTE_PGM_RSRC3_GFX90A:TG_SPLIT: 0
	.section	.text._ZN9rocsparseL33gebsrmm_large_blockdim_kernel_extILi8ELi8ELi2E21rocsparse_complex_numIfEEEv20rocsparse_direction_20rocsparse_operation_iiNS_24const_host_device_scalarIT2_EEPKiS9_PKS6_iiSB_lS7_PS6_l21rocsparse_index_base_b,"axG",@progbits,_ZN9rocsparseL33gebsrmm_large_blockdim_kernel_extILi8ELi8ELi2E21rocsparse_complex_numIfEEEv20rocsparse_direction_20rocsparse_operation_iiNS_24const_host_device_scalarIT2_EEPKiS9_PKS6_iiSB_lS7_PS6_l21rocsparse_index_base_b,comdat
	.globl	_ZN9rocsparseL33gebsrmm_large_blockdim_kernel_extILi8ELi8ELi2E21rocsparse_complex_numIfEEEv20rocsparse_direction_20rocsparse_operation_iiNS_24const_host_device_scalarIT2_EEPKiS9_PKS6_iiSB_lS7_PS6_l21rocsparse_index_base_b ; -- Begin function _ZN9rocsparseL33gebsrmm_large_blockdim_kernel_extILi8ELi8ELi2E21rocsparse_complex_numIfEEEv20rocsparse_direction_20rocsparse_operation_iiNS_24const_host_device_scalarIT2_EEPKiS9_PKS6_iiSB_lS7_PS6_l21rocsparse_index_base_b
	.p2align	8
	.type	_ZN9rocsparseL33gebsrmm_large_blockdim_kernel_extILi8ELi8ELi2E21rocsparse_complex_numIfEEEv20rocsparse_direction_20rocsparse_operation_iiNS_24const_host_device_scalarIT2_EEPKiS9_PKS6_iiSB_lS7_PS6_l21rocsparse_index_base_b,@function
_ZN9rocsparseL33gebsrmm_large_blockdim_kernel_extILi8ELi8ELi2E21rocsparse_complex_numIfEEEv20rocsparse_direction_20rocsparse_operation_iiNS_24const_host_device_scalarIT2_EEPKiS9_PKS6_iiSB_lS7_PS6_l21rocsparse_index_base_b: ; @_ZN9rocsparseL33gebsrmm_large_blockdim_kernel_extILi8ELi8ELi2E21rocsparse_complex_numIfEEEv20rocsparse_direction_20rocsparse_operation_iiNS_24const_host_device_scalarIT2_EEPKiS9_PKS6_iiSB_lS7_PS6_l21rocsparse_index_base_b
; %bb.0:
	s_load_dwordx2 s[4:5], s[0:1], 0x10
	s_load_dwordx4 s[16:19], s[0:1], 0x40
	s_load_dwordx2 s[28:29], s[0:1], 0x60
	s_add_u32 s6, s0, 16
	s_addc_u32 s7, s1, 0
	s_add_u32 s8, s0, 0x48
	s_addc_u32 s9, s1, 0
	s_waitcnt lgkmcnt(0)
	s_bitcmp1_b32 s29, 0
	s_cselect_b32 s5, s7, s5
	s_cselect_b32 s4, s6, s4
	v_mov_b32_e32 v2, s4
	v_mov_b32_e32 v3, s5
	s_cselect_b32 s4, s9, s19
	s_cselect_b32 s5, s8, s18
	v_mov_b32_e32 v4, s5
	v_mov_b32_e32 v5, s4
	flat_load_dwordx2 v[2:3], v[2:3]
	s_mov_b32 s34, 0
	flat_load_dwordx2 v[4:5], v[4:5]
	s_waitcnt vmcnt(0) lgkmcnt(0)
	v_cmp_eq_f32_e32 vcc, 0, v2
	v_cmp_eq_f32_e64 s[4:5], 0, v3
	v_cmp_eq_f32_e64 s[8:9], 1.0, v4
	v_cmp_eq_f32_e64 s[6:7], 0, v5
	s_and_b64 s[4:5], vcc, s[4:5]
	s_and_b64 s[8:9], s[8:9], s[6:7]
	s_and_b64 s[4:5], s[4:5], s[8:9]
	s_xor_b64 s[4:5], s[4:5], -1
	s_and_saveexec_b64 s[8:9], s[4:5]
	s_cbranch_execz .LBB6_43
; %bb.1:
	s_load_dwordx4 s[24:27], s[0:1], 0x0
	s_mov_b32 s29, 0
	s_waitcnt lgkmcnt(0)
	s_cmp_lt_i32 s2, s26
	s_cselect_b64 s[18:19], -1, 0
	s_cmp_ge_i32 s2, s26
	s_cbranch_scc1 .LBB6_3
; %bb.2:
	s_load_dwordx2 s[8:9], s[0:1], 0x18
	s_mov_b32 s4, s3
	s_ashr_i32 s3, s2, 31
	s_lshl_b64 s[10:11], s[2:3], 2
	s_mov_b32 s3, s4
	s_waitcnt lgkmcnt(0)
	s_add_u32 s4, s8, s10
	s_addc_u32 s5, s9, s11
	s_load_dwordx2 s[8:9], s[4:5], 0x0
	s_waitcnt lgkmcnt(0)
	s_sub_i32 s34, s8, s28
	s_sub_i32 s29, s9, s28
.LBB6_3:
	s_load_dwordx2 s[30:31], s[0:1], 0x50
	s_load_dwordx2 s[36:37], s[0:1], 0x30
	v_bfe_u32 v10, v0, 10, 10
	v_lshl_add_u32 v8, s3, 4, v10
	v_add_u32_e32 v6, 8, v8
	v_and_b32_e32 v12, 0x3ff, v0
	v_cmp_gt_i32_e64 s[8:9], s27, v8
	v_cmp_gt_i32_e64 s[4:5], s27, v6
	s_cmp_ge_i32 s34, s29
	s_waitcnt lgkmcnt(0)
	v_cmp_gt_i32_e64 s[10:11], s36, v12
	s_cbranch_scc1 .LBB6_31
; %bb.4:
	v_cmp_gt_i32_e32 vcc, s37, v10
	s_and_b64 s[38:39], s[10:11], vcc
	v_mov_b32_e32 v0, 0x400
	s_cmpk_lg_i32 s25, 0x6f
	v_lshlrev_b32_e32 v13, 6, v10
	s_load_dwordx4 s[20:23], s[0:1], 0x20
	s_load_dwordx2 s[26:27], s[0:1], 0x38
	v_lshl_add_u32 v18, v10, 3, v0
	s_cselect_b64 s[14:15], -1, 0
	s_cmp_eq_u32 s24, 0
	v_mad_u64_u32 v[0:1], s[24:25], s36, v10, v[12:13]
	v_mad_u64_u32 v[10:11], s[24:25], s37, v12, v[10:11]
	v_ashrrev_i32_e32 v9, 31, v8
	s_cselect_b64 vcc, -1, 0
	v_ashrrev_i32_e32 v7, 31, v6
	v_mul_lo_u32 v11, s17, v8
	v_mul_lo_u32 v16, s16, v9
	v_mad_u64_u32 v[14:15], s[24:25], s16, v8, 0
	s_cmp_gt_i32 s37, 0
	v_add3_u32 v15, v15, v16, v11
	v_mul_lo_u32 v11, s17, v6
	v_mul_lo_u32 v20, s16, v7
	v_mad_u64_u32 v[16:17], s[24:25], s16, v6, 0
	v_cndmask_b32_e32 v24, v0, v10, vcc
	v_mov_b32_e32 v10, 0
	v_lshlrev_b32_e32 v19, 3, v12
	v_lshlrev_b32_e32 v1, 6, v12
	s_cselect_b64 s[40:41], -1, 0
	v_add3_u32 v17, v17, v20, v11
	v_mov_b32_e32 v11, v10
	v_cndmask_b32_e64 v0, 0, 1, s[14:15]
	s_mul_i32 s3, s37, s36
	v_cmp_gt_i32_e64 s[12:13], s37, v12
	s_and_b64 s[24:25], s[8:9], s[40:41]
	s_and_b64 s[40:41], s[4:5], s[40:41]
	v_add_u32_e32 v25, 0x400, v1
	v_add_u32_e32 v26, 0x200, v13
	v_cmp_ne_u32_e64 s[14:15], 1, v0
	v_add_u32_e32 v27, v19, v13
	v_add_u32_e32 v28, v18, v1
	v_mov_b64_e32 v[0:1], v[10:11]
	s_branch .LBB6_7
.LBB6_5:                                ;   in Loop: Header=BB6_7 Depth=1
	s_or_b64 exec, exec, s[44:45]
.LBB6_6:                                ;   in Loop: Header=BB6_7 Depth=1
	s_or_b64 exec, exec, s[42:43]
	s_add_i32 s34, s34, 1
	s_cmp_ge_i32 s34, s29
	; wave barrier
	s_cbranch_scc1 .LBB6_32
.LBB6_7:                                ; =>This Loop Header: Depth=1
                                        ;     Child Loop BB6_27 Depth 2
                                        ;     Child Loop BB6_30 Depth 2
	s_and_saveexec_b64 s[42:43], s[12:13]
	s_cbranch_execz .LBB6_22
; %bb.8:                                ;   in Loop: Header=BB6_7 Depth=1
	s_ashr_i32 s35, s34, 31
	s_lshl_b64 s[44:45], s[34:35], 2
	s_waitcnt lgkmcnt(0)
	s_add_u32 s44, s20, s44
	s_addc_u32 s45, s21, s45
	s_load_dword s33, s[44:45], 0x0
	s_and_b64 vcc, exec, s[14:15]
	s_waitcnt lgkmcnt(0)
	s_sub_i32 s33, s33, s28
	s_mul_i32 s33, s33, s37
	v_add_u32_e32 v18, s33, v12
	v_ashrrev_i32_e32 v19, 31, v18
	s_cbranch_vccnz .LBB6_14
; %bb.9:                                ;   in Loop: Header=BB6_7 Depth=1
	v_mul_lo_u32 v22, s17, v18
	v_mul_lo_u32 v23, s16, v19
	v_mad_u64_u32 v[20:21], s[44:45], s16, v18, 0
	v_add3_u32 v21, v21, v23, v22
	v_lshl_add_u64 v[22:23], v[20:21], 3, s[26:27]
	s_and_saveexec_b64 s[44:45], s[8:9]
	s_cbranch_execz .LBB6_11
; %bb.10:                               ;   in Loop: Header=BB6_7 Depth=1
	v_lshl_add_u64 v[20:21], v[8:9], 3, v[22:23]
	global_load_dwordx2 v[20:21], v[20:21], off
	s_waitcnt vmcnt(0)
	ds_write_b64 v27, v[20:21]
.LBB6_11:                               ;   in Loop: Header=BB6_7 Depth=1
	s_or_b64 exec, exec, s[44:45]
	s_mov_b64 s[46:47], 0
	s_mov_b64 s[44:45], 0
                                        ; implicit-def: $vgpr20_vgpr21
	s_and_saveexec_b64 s[48:49], s[4:5]
	s_xor_b64 s[48:49], exec, s[48:49]
; %bb.12:                               ;   in Loop: Header=BB6_7 Depth=1
	s_mov_b64 s[44:45], exec
	v_lshl_add_u64 v[20:21], v[6:7], 3, v[22:23]
; %bb.13:                               ;   in Loop: Header=BB6_7 Depth=1
	s_or_b64 exec, exec, s[48:49]
	s_and_b64 vcc, exec, s[46:47]
	s_cbranch_vccnz .LBB6_15
	s_branch .LBB6_20
.LBB6_14:                               ;   in Loop: Header=BB6_7 Depth=1
	s_mov_b64 s[44:45], 0
                                        ; implicit-def: $vgpr20_vgpr21
	s_cbranch_execz .LBB6_20
.LBB6_15:                               ;   in Loop: Header=BB6_7 Depth=1
	v_lshl_add_u64 v[18:19], v[18:19], 3, s[26:27]
	s_and_saveexec_b64 s[46:47], s[8:9]
	s_cbranch_execz .LBB6_17
; %bb.16:                               ;   in Loop: Header=BB6_7 Depth=1
	v_lshl_add_u64 v[20:21], v[14:15], 3, v[18:19]
	global_load_dwordx2 v[20:21], v[20:21], off
	s_waitcnt vmcnt(0)
	ds_write_b64 v27, v[20:21]
.LBB6_17:                               ;   in Loop: Header=BB6_7 Depth=1
	s_or_b64 exec, exec, s[46:47]
                                        ; implicit-def: $vgpr20_vgpr21
	s_and_saveexec_b64 s[46:47], s[4:5]
; %bb.18:                               ;   in Loop: Header=BB6_7 Depth=1
	v_lshl_add_u64 v[20:21], v[16:17], 3, v[18:19]
	s_or_b64 s[44:45], s[44:45], exec
; %bb.19:                               ;   in Loop: Header=BB6_7 Depth=1
	s_or_b64 exec, exec, s[46:47]
.LBB6_20:                               ;   in Loop: Header=BB6_7 Depth=1
	s_and_b64 exec, exec, s[44:45]
	s_cbranch_execz .LBB6_22
; %bb.21:                               ;   in Loop: Header=BB6_7 Depth=1
	global_load_dwordx2 v[18:19], v[20:21], off
	s_waitcnt vmcnt(0)
	ds_write_b64 v27, v[18:19] offset:512
.LBB6_22:                               ;   in Loop: Header=BB6_7 Depth=1
	s_or_b64 exec, exec, s[42:43]
	s_and_saveexec_b64 s[42:43], s[38:39]
	s_cbranch_execz .LBB6_24
; %bb.23:                               ;   in Loop: Header=BB6_7 Depth=1
	s_mul_i32 s33, s3, s34
	v_add_u32_e32 v18, s33, v24
	v_ashrrev_i32_e32 v19, 31, v18
	s_waitcnt lgkmcnt(0)
	v_lshl_add_u64 v[18:19], v[18:19], 3, s[22:23]
	global_load_dwordx2 v[18:19], v[18:19], off
	s_waitcnt vmcnt(0)
	ds_write_b64 v28, v[18:19]
.LBB6_24:                               ;   in Loop: Header=BB6_7 Depth=1
	s_or_b64 exec, exec, s[42:43]
	s_waitcnt lgkmcnt(0)
	; wave barrier
	s_and_saveexec_b64 s[42:43], s[10:11]
	s_cbranch_execz .LBB6_6
; %bb.25:                               ;   in Loop: Header=BB6_7 Depth=1
	s_and_saveexec_b64 s[44:45], s[24:25]
	s_cbranch_execz .LBB6_28
; %bb.26:                               ;   in Loop: Header=BB6_7 Depth=1
	v_mov_b32_e32 v18, v25
	v_mov_b32_e32 v19, v13
	s_mov_b32 s33, s37
.LBB6_27:                               ;   Parent Loop BB6_7 Depth=1
                                        ; =>  This Inner Loop Header: Depth=2
	ds_read_b64 v[20:21], v19
	ds_read_b64 v[22:23], v18
	s_add_i32 s33, s33, -1
	v_add_u32_e32 v19, 8, v19
	v_add_u32_e32 v18, 8, v18
	s_cmp_lg_u32 s33, 0
	s_waitcnt lgkmcnt(0)
	v_xor_b32_e32 v30, 0x80000000, v23
	v_pk_fma_f32 v[10:11], v[22:23], v[20:21], v[10:11] op_sel_hi:[1,0,1]
	v_mov_b32_e32 v31, v22
	v_pk_fma_f32 v[10:11], v[30:31], v[20:21], v[10:11] op_sel:[0,1,0]
	s_cbranch_scc1 .LBB6_27
.LBB6_28:                               ;   in Loop: Header=BB6_7 Depth=1
	s_or_b64 exec, exec, s[44:45]
	s_and_saveexec_b64 s[44:45], s[40:41]
	s_cbranch_execz .LBB6_5
; %bb.29:                               ;   in Loop: Header=BB6_7 Depth=1
	v_mov_b32_e32 v18, v25
	s_mov_b32 s33, s37
	v_mov_b32_e32 v19, v26
.LBB6_30:                               ;   Parent Loop BB6_7 Depth=1
                                        ; =>  This Inner Loop Header: Depth=2
	ds_read_b64 v[20:21], v19
	ds_read_b64 v[22:23], v18
	s_add_i32 s33, s33, -1
	v_add_u32_e32 v19, 8, v19
	v_add_u32_e32 v18, 8, v18
	s_cmp_lg_u32 s33, 0
	s_waitcnt lgkmcnt(0)
	v_xor_b32_e32 v30, 0x80000000, v23
	v_pk_fma_f32 v[0:1], v[22:23], v[20:21], v[0:1] op_sel_hi:[1,0,1]
	v_mov_b32_e32 v31, v22
	v_pk_fma_f32 v[0:1], v[30:31], v[20:21], v[0:1] op_sel:[0,1,0]
	s_cbranch_scc1 .LBB6_30
	s_branch .LBB6_5
.LBB6_31:
	v_mov_b32_e32 v0, 0
	v_mov_b32_e32 v1, v0
	v_mov_b64_e32 v[10:11], v[0:1]
.LBB6_32:
	s_and_b64 s[10:11], s[18:19], s[10:11]
	s_and_b64 exec, exec, s[10:11]
	s_cbranch_execz .LBB6_43
; %bb.33:
	s_load_dwordx2 s[0:1], s[0:1], 0x58
	s_mul_i32 s2, s36, s2
	v_add_u32_e32 v12, s2, v12
	v_cmp_neq_f32_e32 vcc, 0, v4
	s_xor_b64 s[2:3], s[6:7], -1
	v_ashrrev_i32_e32 v13, 31, v12
	s_or_b64 s[2:3], vcc, s[2:3]
	v_lshl_add_u64 v[12:13], v[12:13], 3, s[30:31]
	s_and_saveexec_b64 s[6:7], s[8:9]
	s_cbranch_execz .LBB6_38
; %bb.34:
	v_ashrrev_i32_e32 v7, 31, v8
	s_waitcnt lgkmcnt(0)
	v_mul_lo_u32 v9, s1, v8
	v_mul_lo_u32 v7, s0, v7
	s_and_saveexec_b64 s[8:9], s[2:3]
	s_xor_b64 s[8:9], exec, s[8:9]
	s_cbranch_execz .LBB6_36
; %bb.35:
	v_mad_u64_u32 v[14:15], s[10:11], s0, v8, 0
	v_add3_u32 v15, v15, v7, v9
	v_lshl_add_u64 v[8:9], v[14:15], 3, v[12:13]
	global_load_dwordx2 v[14:15], v[8:9], off
	v_xor_b32_e32 v16, 0x80000000, v3
	v_mov_b32_e32 v17, v2
	v_pk_mul_f32 v[16:17], v[10:11], v[16:17] op_sel:[1,0]
	v_xor_b32_e32 v18, 0x80000000, v5
	v_pk_fma_f32 v[10:11], v[2:3], v[10:11], v[16:17] op_sel_hi:[1,0,1]
	v_mov_b32_e32 v19, v4
                                        ; implicit-def: $vgpr7
	s_waitcnt vmcnt(0)
	v_pk_fma_f32 v[10:11], v[4:5], v[14:15], v[10:11] op_sel_hi:[1,0,1]
	s_nop 0
	v_pk_fma_f32 v[10:11], v[18:19], v[14:15], v[10:11] op_sel:[0,1,0]
	global_store_dwordx2 v[8:9], v[10:11], off
                                        ; implicit-def: $vgpr10_vgpr11
                                        ; implicit-def: $vgpr8
                                        ; implicit-def: $vgpr9
.LBB6_36:
	s_andn2_saveexec_b64 s[8:9], s[8:9]
	s_cbranch_execz .LBB6_38
; %bb.37:
	v_xor_b32_e32 v14, 0x80000000, v3
	v_mov_b32_e32 v15, v2
	v_mad_u64_u32 v[16:17], s[8:9], s0, v8, 0
	v_pk_mul_f32 v[14:15], v[10:11], v[14:15] op_sel:[1,0]
	v_add3_u32 v17, v17, v7, v9
	v_lshl_add_u64 v[8:9], v[16:17], 3, v[12:13]
	v_pk_fma_f32 v[10:11], v[2:3], v[10:11], v[14:15] op_sel_hi:[1,0,1]
	global_store_dwordx2 v[8:9], v[10:11], off
.LBB6_38:
	s_or_b64 exec, exec, s[6:7]
	s_and_b64 exec, exec, s[4:5]
	s_cbranch_execz .LBB6_43
; %bb.39:
	v_ashrrev_i32_e32 v7, 31, v6
	s_waitcnt lgkmcnt(0)
	v_mul_lo_u32 v8, s1, v6
	v_mul_lo_u32 v7, s0, v7
	s_and_saveexec_b64 s[4:5], s[2:3]
	s_xor_b64 s[2:3], exec, s[4:5]
	s_cbranch_execz .LBB6_41
; %bb.40:
	v_mad_u64_u32 v[10:11], s[4:5], s0, v6, 0
	v_add3_u32 v11, v11, v7, v8
	v_lshl_add_u64 v[6:7], v[10:11], 3, v[12:13]
	global_load_dwordx2 v[8:9], v[6:7], off
	v_xor_b32_e32 v10, 0x80000000, v3
	v_mov_b32_e32 v11, v2
	v_pk_mul_f32 v[10:11], v[0:1], v[10:11] op_sel:[1,0]
	v_xor_b32_e32 v12, 0x80000000, v5
	v_pk_fma_f32 v[0:1], v[2:3], v[0:1], v[10:11] op_sel_hi:[1,0,1]
	v_mov_b32_e32 v13, v4
                                        ; implicit-def: $vgpr2_vgpr3
	s_waitcnt vmcnt(0)
	v_pk_fma_f32 v[0:1], v[4:5], v[8:9], v[0:1] op_sel_hi:[1,0,1]
	s_nop 0
	v_pk_fma_f32 v[0:1], v[12:13], v[8:9], v[0:1] op_sel:[0,1,0]
	global_store_dwordx2 v[6:7], v[0:1], off
                                        ; implicit-def: $vgpr0_vgpr1
                                        ; implicit-def: $vgpr6
                                        ; implicit-def: $vgpr7
                                        ; implicit-def: $vgpr8
                                        ; implicit-def: $vgpr12_vgpr13
.LBB6_41:
	s_andn2_saveexec_b64 s[2:3], s[2:3]
	s_cbranch_execz .LBB6_43
; %bb.42:
	v_xor_b32_e32 v4, 0x80000000, v3
	v_mov_b32_e32 v5, v2
	v_mad_u64_u32 v[10:11], s[0:1], s0, v6, 0
	v_pk_mul_f32 v[4:5], v[0:1], v[4:5] op_sel:[1,0]
	v_add3_u32 v11, v11, v7, v8
	v_lshl_add_u64 v[6:7], v[10:11], 3, v[12:13]
	v_pk_fma_f32 v[0:1], v[2:3], v[0:1], v[4:5] op_sel_hi:[1,0,1]
	global_store_dwordx2 v[6:7], v[0:1], off
.LBB6_43:
	s_endpgm
	.section	.rodata,"a",@progbits
	.p2align	6, 0x0
	.amdhsa_kernel _ZN9rocsparseL33gebsrmm_large_blockdim_kernel_extILi8ELi8ELi2E21rocsparse_complex_numIfEEEv20rocsparse_direction_20rocsparse_operation_iiNS_24const_host_device_scalarIT2_EEPKiS9_PKS6_iiSB_lS7_PS6_l21rocsparse_index_base_b
		.amdhsa_group_segment_fixed_size 1536
		.amdhsa_private_segment_fixed_size 0
		.amdhsa_kernarg_size 104
		.amdhsa_user_sgpr_count 2
		.amdhsa_user_sgpr_dispatch_ptr 0
		.amdhsa_user_sgpr_queue_ptr 0
		.amdhsa_user_sgpr_kernarg_segment_ptr 1
		.amdhsa_user_sgpr_dispatch_id 0
		.amdhsa_user_sgpr_kernarg_preload_length 0
		.amdhsa_user_sgpr_kernarg_preload_offset 0
		.amdhsa_user_sgpr_private_segment_size 0
		.amdhsa_uses_dynamic_stack 0
		.amdhsa_enable_private_segment 0
		.amdhsa_system_sgpr_workgroup_id_x 1
		.amdhsa_system_sgpr_workgroup_id_y 1
		.amdhsa_system_sgpr_workgroup_id_z 0
		.amdhsa_system_sgpr_workgroup_info 0
		.amdhsa_system_vgpr_workitem_id 1
		.amdhsa_next_free_vgpr 32
		.amdhsa_next_free_sgpr 50
		.amdhsa_accum_offset 32
		.amdhsa_reserve_vcc 1
		.amdhsa_float_round_mode_32 0
		.amdhsa_float_round_mode_16_64 0
		.amdhsa_float_denorm_mode_32 3
		.amdhsa_float_denorm_mode_16_64 3
		.amdhsa_dx10_clamp 1
		.amdhsa_ieee_mode 1
		.amdhsa_fp16_overflow 0
		.amdhsa_tg_split 0
		.amdhsa_exception_fp_ieee_invalid_op 0
		.amdhsa_exception_fp_denorm_src 0
		.amdhsa_exception_fp_ieee_div_zero 0
		.amdhsa_exception_fp_ieee_overflow 0
		.amdhsa_exception_fp_ieee_underflow 0
		.amdhsa_exception_fp_ieee_inexact 0
		.amdhsa_exception_int_div_zero 0
	.end_amdhsa_kernel
	.section	.text._ZN9rocsparseL33gebsrmm_large_blockdim_kernel_extILi8ELi8ELi2E21rocsparse_complex_numIfEEEv20rocsparse_direction_20rocsparse_operation_iiNS_24const_host_device_scalarIT2_EEPKiS9_PKS6_iiSB_lS7_PS6_l21rocsparse_index_base_b,"axG",@progbits,_ZN9rocsparseL33gebsrmm_large_blockdim_kernel_extILi8ELi8ELi2E21rocsparse_complex_numIfEEEv20rocsparse_direction_20rocsparse_operation_iiNS_24const_host_device_scalarIT2_EEPKiS9_PKS6_iiSB_lS7_PS6_l21rocsparse_index_base_b,comdat
.Lfunc_end6:
	.size	_ZN9rocsparseL33gebsrmm_large_blockdim_kernel_extILi8ELi8ELi2E21rocsparse_complex_numIfEEEv20rocsparse_direction_20rocsparse_operation_iiNS_24const_host_device_scalarIT2_EEPKiS9_PKS6_iiSB_lS7_PS6_l21rocsparse_index_base_b, .Lfunc_end6-_ZN9rocsparseL33gebsrmm_large_blockdim_kernel_extILi8ELi8ELi2E21rocsparse_complex_numIfEEEv20rocsparse_direction_20rocsparse_operation_iiNS_24const_host_device_scalarIT2_EEPKiS9_PKS6_iiSB_lS7_PS6_l21rocsparse_index_base_b
                                        ; -- End function
	.set _ZN9rocsparseL33gebsrmm_large_blockdim_kernel_extILi8ELi8ELi2E21rocsparse_complex_numIfEEEv20rocsparse_direction_20rocsparse_operation_iiNS_24const_host_device_scalarIT2_EEPKiS9_PKS6_iiSB_lS7_PS6_l21rocsparse_index_base_b.num_vgpr, 32
	.set _ZN9rocsparseL33gebsrmm_large_blockdim_kernel_extILi8ELi8ELi2E21rocsparse_complex_numIfEEEv20rocsparse_direction_20rocsparse_operation_iiNS_24const_host_device_scalarIT2_EEPKiS9_PKS6_iiSB_lS7_PS6_l21rocsparse_index_base_b.num_agpr, 0
	.set _ZN9rocsparseL33gebsrmm_large_blockdim_kernel_extILi8ELi8ELi2E21rocsparse_complex_numIfEEEv20rocsparse_direction_20rocsparse_operation_iiNS_24const_host_device_scalarIT2_EEPKiS9_PKS6_iiSB_lS7_PS6_l21rocsparse_index_base_b.numbered_sgpr, 50
	.set _ZN9rocsparseL33gebsrmm_large_blockdim_kernel_extILi8ELi8ELi2E21rocsparse_complex_numIfEEEv20rocsparse_direction_20rocsparse_operation_iiNS_24const_host_device_scalarIT2_EEPKiS9_PKS6_iiSB_lS7_PS6_l21rocsparse_index_base_b.num_named_barrier, 0
	.set _ZN9rocsparseL33gebsrmm_large_blockdim_kernel_extILi8ELi8ELi2E21rocsparse_complex_numIfEEEv20rocsparse_direction_20rocsparse_operation_iiNS_24const_host_device_scalarIT2_EEPKiS9_PKS6_iiSB_lS7_PS6_l21rocsparse_index_base_b.private_seg_size, 0
	.set _ZN9rocsparseL33gebsrmm_large_blockdim_kernel_extILi8ELi8ELi2E21rocsparse_complex_numIfEEEv20rocsparse_direction_20rocsparse_operation_iiNS_24const_host_device_scalarIT2_EEPKiS9_PKS6_iiSB_lS7_PS6_l21rocsparse_index_base_b.uses_vcc, 1
	.set _ZN9rocsparseL33gebsrmm_large_blockdim_kernel_extILi8ELi8ELi2E21rocsparse_complex_numIfEEEv20rocsparse_direction_20rocsparse_operation_iiNS_24const_host_device_scalarIT2_EEPKiS9_PKS6_iiSB_lS7_PS6_l21rocsparse_index_base_b.uses_flat_scratch, 0
	.set _ZN9rocsparseL33gebsrmm_large_blockdim_kernel_extILi8ELi8ELi2E21rocsparse_complex_numIfEEEv20rocsparse_direction_20rocsparse_operation_iiNS_24const_host_device_scalarIT2_EEPKiS9_PKS6_iiSB_lS7_PS6_l21rocsparse_index_base_b.has_dyn_sized_stack, 0
	.set _ZN9rocsparseL33gebsrmm_large_blockdim_kernel_extILi8ELi8ELi2E21rocsparse_complex_numIfEEEv20rocsparse_direction_20rocsparse_operation_iiNS_24const_host_device_scalarIT2_EEPKiS9_PKS6_iiSB_lS7_PS6_l21rocsparse_index_base_b.has_recursion, 0
	.set _ZN9rocsparseL33gebsrmm_large_blockdim_kernel_extILi8ELi8ELi2E21rocsparse_complex_numIfEEEv20rocsparse_direction_20rocsparse_operation_iiNS_24const_host_device_scalarIT2_EEPKiS9_PKS6_iiSB_lS7_PS6_l21rocsparse_index_base_b.has_indirect_call, 0
	.section	.AMDGPU.csdata,"",@progbits
; Kernel info:
; codeLenInByte = 1644
; TotalNumSgprs: 56
; NumVgprs: 32
; NumAgprs: 0
; TotalNumVgprs: 32
; ScratchSize: 0
; MemoryBound: 0
; FloatMode: 240
; IeeeMode: 1
; LDSByteSize: 1536 bytes/workgroup (compile time only)
; SGPRBlocks: 6
; VGPRBlocks: 3
; NumSGPRsForWavesPerEU: 56
; NumVGPRsForWavesPerEU: 32
; AccumOffset: 32
; Occupancy: 8
; WaveLimiterHint : 1
; COMPUTE_PGM_RSRC2:SCRATCH_EN: 0
; COMPUTE_PGM_RSRC2:USER_SGPR: 2
; COMPUTE_PGM_RSRC2:TRAP_HANDLER: 0
; COMPUTE_PGM_RSRC2:TGID_X_EN: 1
; COMPUTE_PGM_RSRC2:TGID_Y_EN: 1
; COMPUTE_PGM_RSRC2:TGID_Z_EN: 0
; COMPUTE_PGM_RSRC2:TIDIG_COMP_CNT: 1
; COMPUTE_PGM_RSRC3_GFX90A:ACCUM_OFFSET: 7
; COMPUTE_PGM_RSRC3_GFX90A:TG_SPLIT: 0
	.section	.text._ZN9rocsparseL33gebsrmm_large_blockdim_kernel_extILi16ELi16ELi2E21rocsparse_complex_numIfEEEv20rocsparse_direction_20rocsparse_operation_iiNS_24const_host_device_scalarIT2_EEPKiS9_PKS6_iiSB_lS7_PS6_l21rocsparse_index_base_b,"axG",@progbits,_ZN9rocsparseL33gebsrmm_large_blockdim_kernel_extILi16ELi16ELi2E21rocsparse_complex_numIfEEEv20rocsparse_direction_20rocsparse_operation_iiNS_24const_host_device_scalarIT2_EEPKiS9_PKS6_iiSB_lS7_PS6_l21rocsparse_index_base_b,comdat
	.globl	_ZN9rocsparseL33gebsrmm_large_blockdim_kernel_extILi16ELi16ELi2E21rocsparse_complex_numIfEEEv20rocsparse_direction_20rocsparse_operation_iiNS_24const_host_device_scalarIT2_EEPKiS9_PKS6_iiSB_lS7_PS6_l21rocsparse_index_base_b ; -- Begin function _ZN9rocsparseL33gebsrmm_large_blockdim_kernel_extILi16ELi16ELi2E21rocsparse_complex_numIfEEEv20rocsparse_direction_20rocsparse_operation_iiNS_24const_host_device_scalarIT2_EEPKiS9_PKS6_iiSB_lS7_PS6_l21rocsparse_index_base_b
	.p2align	8
	.type	_ZN9rocsparseL33gebsrmm_large_blockdim_kernel_extILi16ELi16ELi2E21rocsparse_complex_numIfEEEv20rocsparse_direction_20rocsparse_operation_iiNS_24const_host_device_scalarIT2_EEPKiS9_PKS6_iiSB_lS7_PS6_l21rocsparse_index_base_b,@function
_ZN9rocsparseL33gebsrmm_large_blockdim_kernel_extILi16ELi16ELi2E21rocsparse_complex_numIfEEEv20rocsparse_direction_20rocsparse_operation_iiNS_24const_host_device_scalarIT2_EEPKiS9_PKS6_iiSB_lS7_PS6_l21rocsparse_index_base_b: ; @_ZN9rocsparseL33gebsrmm_large_blockdim_kernel_extILi16ELi16ELi2E21rocsparse_complex_numIfEEEv20rocsparse_direction_20rocsparse_operation_iiNS_24const_host_device_scalarIT2_EEPKiS9_PKS6_iiSB_lS7_PS6_l21rocsparse_index_base_b
; %bb.0:
	s_load_dwordx2 s[4:5], s[0:1], 0x10
	s_load_dwordx4 s[16:19], s[0:1], 0x40
	s_load_dwordx2 s[28:29], s[0:1], 0x60
	s_add_u32 s6, s0, 16
	s_addc_u32 s7, s1, 0
	s_add_u32 s8, s0, 0x48
	s_addc_u32 s9, s1, 0
	s_waitcnt lgkmcnt(0)
	s_bitcmp1_b32 s29, 0
	s_cselect_b32 s5, s7, s5
	s_cselect_b32 s4, s6, s4
	v_mov_b32_e32 v2, s4
	v_mov_b32_e32 v3, s5
	s_cselect_b32 s4, s9, s19
	s_cselect_b32 s5, s8, s18
	v_mov_b32_e32 v4, s5
	v_mov_b32_e32 v5, s4
	flat_load_dwordx2 v[2:3], v[2:3]
	s_mov_b32 s34, 0
	flat_load_dwordx2 v[4:5], v[4:5]
	s_waitcnt vmcnt(0) lgkmcnt(0)
	v_cmp_eq_f32_e32 vcc, 0, v2
	v_cmp_eq_f32_e64 s[4:5], 0, v3
	v_cmp_eq_f32_e64 s[8:9], 1.0, v4
	v_cmp_eq_f32_e64 s[6:7], 0, v5
	s_and_b64 s[4:5], vcc, s[4:5]
	s_and_b64 s[8:9], s[8:9], s[6:7]
	s_and_b64 s[4:5], s[4:5], s[8:9]
	s_xor_b64 s[4:5], s[4:5], -1
	s_and_saveexec_b64 s[8:9], s[4:5]
	s_cbranch_execz .LBB7_43
; %bb.1:
	s_load_dwordx4 s[24:27], s[0:1], 0x0
	s_mov_b32 s29, 0
	s_waitcnt lgkmcnt(0)
	s_cmp_lt_i32 s2, s26
	s_cselect_b64 s[18:19], -1, 0
	s_cmp_ge_i32 s2, s26
	s_cbranch_scc1 .LBB7_3
; %bb.2:
	s_load_dwordx2 s[8:9], s[0:1], 0x18
	s_mov_b32 s4, s3
	s_ashr_i32 s3, s2, 31
	s_lshl_b64 s[10:11], s[2:3], 2
	s_mov_b32 s3, s4
	s_waitcnt lgkmcnt(0)
	s_add_u32 s4, s8, s10
	s_addc_u32 s5, s9, s11
	s_load_dwordx2 s[8:9], s[4:5], 0x0
	s_waitcnt lgkmcnt(0)
	s_sub_i32 s34, s8, s28
	s_sub_i32 s29, s9, s28
.LBB7_3:
	s_load_dwordx2 s[30:31], s[0:1], 0x50
	s_load_dwordx2 s[36:37], s[0:1], 0x30
	v_bfe_u32 v10, v0, 10, 10
	v_lshl_add_u32 v8, s3, 5, v10
	v_add_u32_e32 v6, 16, v8
	v_and_b32_e32 v12, 0x3ff, v0
	v_cmp_gt_i32_e64 s[8:9], s27, v8
	v_cmp_gt_i32_e64 s[4:5], s27, v6
	s_cmp_ge_i32 s34, s29
	s_waitcnt lgkmcnt(0)
	v_cmp_gt_i32_e64 s[10:11], s36, v12
	s_cbranch_scc1 .LBB7_31
; %bb.4:
	v_cmp_gt_i32_e32 vcc, s37, v10
	s_and_b64 s[38:39], s[10:11], vcc
	v_mov_b32_e32 v0, 0x1000
	s_cmpk_lg_i32 s25, 0x6f
	v_lshlrev_b32_e32 v13, 7, v10
	s_load_dwordx4 s[20:23], s[0:1], 0x20
	s_load_dwordx2 s[26:27], s[0:1], 0x38
	v_lshl_add_u32 v18, v10, 3, v0
	s_cselect_b64 s[14:15], -1, 0
	s_cmp_eq_u32 s24, 0
	v_mad_u64_u32 v[0:1], s[24:25], s36, v10, v[12:13]
	v_mad_u64_u32 v[10:11], s[24:25], s37, v12, v[10:11]
	v_ashrrev_i32_e32 v9, 31, v8
	s_cselect_b64 vcc, -1, 0
	v_ashrrev_i32_e32 v7, 31, v6
	v_mul_lo_u32 v11, s17, v8
	v_mul_lo_u32 v16, s16, v9
	v_mad_u64_u32 v[14:15], s[24:25], s16, v8, 0
	s_cmp_gt_i32 s37, 0
	v_add3_u32 v15, v15, v16, v11
	v_mul_lo_u32 v11, s17, v6
	v_mul_lo_u32 v20, s16, v7
	v_mad_u64_u32 v[16:17], s[24:25], s16, v6, 0
	v_cndmask_b32_e32 v24, v0, v10, vcc
	v_mov_b32_e32 v10, 0
	v_lshlrev_b32_e32 v19, 3, v12
	v_lshlrev_b32_e32 v1, 7, v12
	s_cselect_b64 s[40:41], -1, 0
	v_add3_u32 v17, v17, v20, v11
	v_mov_b32_e32 v11, v10
	v_cndmask_b32_e64 v0, 0, 1, s[14:15]
	s_mul_i32 s3, s37, s36
	v_cmp_gt_i32_e64 s[12:13], s37, v12
	s_and_b64 s[24:25], s[8:9], s[40:41]
	s_and_b64 s[40:41], s[4:5], s[40:41]
	v_add_u32_e32 v25, 0x1000, v1
	v_add_u32_e32 v26, 0x800, v13
	v_cmp_ne_u32_e64 s[14:15], 1, v0
	v_add_u32_e32 v27, v19, v13
	v_add_u32_e32 v28, v18, v1
	v_mov_b64_e32 v[0:1], v[10:11]
	s_branch .LBB7_7
.LBB7_5:                                ;   in Loop: Header=BB7_7 Depth=1
	s_or_b64 exec, exec, s[44:45]
.LBB7_6:                                ;   in Loop: Header=BB7_7 Depth=1
	s_or_b64 exec, exec, s[42:43]
	s_add_i32 s34, s34, 1
	s_cmp_ge_i32 s34, s29
	s_barrier
	s_cbranch_scc1 .LBB7_32
.LBB7_7:                                ; =>This Loop Header: Depth=1
                                        ;     Child Loop BB7_27 Depth 2
                                        ;     Child Loop BB7_30 Depth 2
	s_and_saveexec_b64 s[42:43], s[12:13]
	s_cbranch_execz .LBB7_22
; %bb.8:                                ;   in Loop: Header=BB7_7 Depth=1
	s_ashr_i32 s35, s34, 31
	s_lshl_b64 s[44:45], s[34:35], 2
	s_waitcnt lgkmcnt(0)
	s_add_u32 s44, s20, s44
	s_addc_u32 s45, s21, s45
	s_load_dword s33, s[44:45], 0x0
	s_and_b64 vcc, exec, s[14:15]
	s_waitcnt lgkmcnt(0)
	s_sub_i32 s33, s33, s28
	s_mul_i32 s33, s33, s37
	v_add_u32_e32 v18, s33, v12
	v_ashrrev_i32_e32 v19, 31, v18
	s_cbranch_vccnz .LBB7_14
; %bb.9:                                ;   in Loop: Header=BB7_7 Depth=1
	v_mul_lo_u32 v22, s17, v18
	v_mul_lo_u32 v23, s16, v19
	v_mad_u64_u32 v[20:21], s[44:45], s16, v18, 0
	v_add3_u32 v21, v21, v23, v22
	v_lshl_add_u64 v[22:23], v[20:21], 3, s[26:27]
	s_and_saveexec_b64 s[44:45], s[8:9]
	s_cbranch_execz .LBB7_11
; %bb.10:                               ;   in Loop: Header=BB7_7 Depth=1
	v_lshl_add_u64 v[20:21], v[8:9], 3, v[22:23]
	global_load_dwordx2 v[20:21], v[20:21], off
	s_waitcnt vmcnt(0)
	ds_write_b64 v27, v[20:21]
.LBB7_11:                               ;   in Loop: Header=BB7_7 Depth=1
	s_or_b64 exec, exec, s[44:45]
	s_mov_b64 s[46:47], 0
	s_mov_b64 s[44:45], 0
                                        ; implicit-def: $vgpr20_vgpr21
	s_and_saveexec_b64 s[48:49], s[4:5]
	s_xor_b64 s[48:49], exec, s[48:49]
; %bb.12:                               ;   in Loop: Header=BB7_7 Depth=1
	s_mov_b64 s[44:45], exec
	v_lshl_add_u64 v[20:21], v[6:7], 3, v[22:23]
; %bb.13:                               ;   in Loop: Header=BB7_7 Depth=1
	s_or_b64 exec, exec, s[48:49]
	s_and_b64 vcc, exec, s[46:47]
	s_cbranch_vccnz .LBB7_15
	s_branch .LBB7_20
.LBB7_14:                               ;   in Loop: Header=BB7_7 Depth=1
	s_mov_b64 s[44:45], 0
                                        ; implicit-def: $vgpr20_vgpr21
	s_cbranch_execz .LBB7_20
.LBB7_15:                               ;   in Loop: Header=BB7_7 Depth=1
	v_lshl_add_u64 v[18:19], v[18:19], 3, s[26:27]
	s_and_saveexec_b64 s[46:47], s[8:9]
	s_cbranch_execz .LBB7_17
; %bb.16:                               ;   in Loop: Header=BB7_7 Depth=1
	v_lshl_add_u64 v[20:21], v[14:15], 3, v[18:19]
	global_load_dwordx2 v[20:21], v[20:21], off
	s_waitcnt vmcnt(0)
	ds_write_b64 v27, v[20:21]
.LBB7_17:                               ;   in Loop: Header=BB7_7 Depth=1
	s_or_b64 exec, exec, s[46:47]
                                        ; implicit-def: $vgpr20_vgpr21
	s_and_saveexec_b64 s[46:47], s[4:5]
; %bb.18:                               ;   in Loop: Header=BB7_7 Depth=1
	v_lshl_add_u64 v[20:21], v[16:17], 3, v[18:19]
	s_or_b64 s[44:45], s[44:45], exec
; %bb.19:                               ;   in Loop: Header=BB7_7 Depth=1
	s_or_b64 exec, exec, s[46:47]
.LBB7_20:                               ;   in Loop: Header=BB7_7 Depth=1
	s_and_b64 exec, exec, s[44:45]
	s_cbranch_execz .LBB7_22
; %bb.21:                               ;   in Loop: Header=BB7_7 Depth=1
	global_load_dwordx2 v[18:19], v[20:21], off
	s_waitcnt vmcnt(0)
	ds_write_b64 v27, v[18:19] offset:2048
.LBB7_22:                               ;   in Loop: Header=BB7_7 Depth=1
	s_or_b64 exec, exec, s[42:43]
	s_and_saveexec_b64 s[42:43], s[38:39]
	s_cbranch_execz .LBB7_24
; %bb.23:                               ;   in Loop: Header=BB7_7 Depth=1
	s_mul_i32 s33, s3, s34
	v_add_u32_e32 v18, s33, v24
	v_ashrrev_i32_e32 v19, 31, v18
	s_waitcnt lgkmcnt(0)
	v_lshl_add_u64 v[18:19], v[18:19], 3, s[22:23]
	global_load_dwordx2 v[18:19], v[18:19], off
	s_waitcnt vmcnt(0)
	ds_write_b64 v28, v[18:19]
.LBB7_24:                               ;   in Loop: Header=BB7_7 Depth=1
	s_or_b64 exec, exec, s[42:43]
	s_waitcnt lgkmcnt(0)
	s_barrier
	s_and_saveexec_b64 s[42:43], s[10:11]
	s_cbranch_execz .LBB7_6
; %bb.25:                               ;   in Loop: Header=BB7_7 Depth=1
	s_and_saveexec_b64 s[44:45], s[24:25]
	s_cbranch_execz .LBB7_28
; %bb.26:                               ;   in Loop: Header=BB7_7 Depth=1
	v_mov_b32_e32 v18, v25
	v_mov_b32_e32 v19, v13
	s_mov_b32 s33, s37
.LBB7_27:                               ;   Parent Loop BB7_7 Depth=1
                                        ; =>  This Inner Loop Header: Depth=2
	ds_read_b64 v[20:21], v19
	ds_read_b64 v[22:23], v18
	s_add_i32 s33, s33, -1
	v_add_u32_e32 v19, 8, v19
	v_add_u32_e32 v18, 8, v18
	s_cmp_lg_u32 s33, 0
	s_waitcnt lgkmcnt(0)
	v_xor_b32_e32 v30, 0x80000000, v23
	v_pk_fma_f32 v[10:11], v[22:23], v[20:21], v[10:11] op_sel_hi:[1,0,1]
	v_mov_b32_e32 v31, v22
	v_pk_fma_f32 v[10:11], v[30:31], v[20:21], v[10:11] op_sel:[0,1,0]
	s_cbranch_scc1 .LBB7_27
.LBB7_28:                               ;   in Loop: Header=BB7_7 Depth=1
	s_or_b64 exec, exec, s[44:45]
	s_and_saveexec_b64 s[44:45], s[40:41]
	s_cbranch_execz .LBB7_5
; %bb.29:                               ;   in Loop: Header=BB7_7 Depth=1
	v_mov_b32_e32 v18, v25
	s_mov_b32 s33, s37
	v_mov_b32_e32 v19, v26
.LBB7_30:                               ;   Parent Loop BB7_7 Depth=1
                                        ; =>  This Inner Loop Header: Depth=2
	ds_read_b64 v[20:21], v19
	ds_read_b64 v[22:23], v18
	s_add_i32 s33, s33, -1
	v_add_u32_e32 v19, 8, v19
	v_add_u32_e32 v18, 8, v18
	s_cmp_lg_u32 s33, 0
	s_waitcnt lgkmcnt(0)
	v_xor_b32_e32 v30, 0x80000000, v23
	v_pk_fma_f32 v[0:1], v[22:23], v[20:21], v[0:1] op_sel_hi:[1,0,1]
	v_mov_b32_e32 v31, v22
	v_pk_fma_f32 v[0:1], v[30:31], v[20:21], v[0:1] op_sel:[0,1,0]
	s_cbranch_scc1 .LBB7_30
	s_branch .LBB7_5
.LBB7_31:
	v_mov_b32_e32 v0, 0
	v_mov_b32_e32 v1, v0
	v_mov_b64_e32 v[10:11], v[0:1]
.LBB7_32:
	s_and_b64 s[10:11], s[18:19], s[10:11]
	s_and_b64 exec, exec, s[10:11]
	s_cbranch_execz .LBB7_43
; %bb.33:
	s_load_dwordx2 s[0:1], s[0:1], 0x58
	s_mul_i32 s2, s36, s2
	v_add_u32_e32 v12, s2, v12
	v_cmp_neq_f32_e32 vcc, 0, v4
	s_xor_b64 s[2:3], s[6:7], -1
	v_ashrrev_i32_e32 v13, 31, v12
	s_or_b64 s[2:3], vcc, s[2:3]
	v_lshl_add_u64 v[12:13], v[12:13], 3, s[30:31]
	s_and_saveexec_b64 s[6:7], s[8:9]
	s_cbranch_execz .LBB7_38
; %bb.34:
	v_ashrrev_i32_e32 v7, 31, v8
	s_waitcnt lgkmcnt(0)
	v_mul_lo_u32 v9, s1, v8
	v_mul_lo_u32 v7, s0, v7
	s_and_saveexec_b64 s[8:9], s[2:3]
	s_xor_b64 s[8:9], exec, s[8:9]
	s_cbranch_execz .LBB7_36
; %bb.35:
	v_mad_u64_u32 v[14:15], s[10:11], s0, v8, 0
	v_add3_u32 v15, v15, v7, v9
	v_lshl_add_u64 v[8:9], v[14:15], 3, v[12:13]
	global_load_dwordx2 v[14:15], v[8:9], off
	v_xor_b32_e32 v16, 0x80000000, v3
	v_mov_b32_e32 v17, v2
	v_pk_mul_f32 v[16:17], v[10:11], v[16:17] op_sel:[1,0]
	v_xor_b32_e32 v18, 0x80000000, v5
	v_pk_fma_f32 v[10:11], v[2:3], v[10:11], v[16:17] op_sel_hi:[1,0,1]
	v_mov_b32_e32 v19, v4
                                        ; implicit-def: $vgpr7
	s_waitcnt vmcnt(0)
	v_pk_fma_f32 v[10:11], v[4:5], v[14:15], v[10:11] op_sel_hi:[1,0,1]
	s_nop 0
	v_pk_fma_f32 v[10:11], v[18:19], v[14:15], v[10:11] op_sel:[0,1,0]
	global_store_dwordx2 v[8:9], v[10:11], off
                                        ; implicit-def: $vgpr10_vgpr11
                                        ; implicit-def: $vgpr8
                                        ; implicit-def: $vgpr9
.LBB7_36:
	s_andn2_saveexec_b64 s[8:9], s[8:9]
	s_cbranch_execz .LBB7_38
; %bb.37:
	v_xor_b32_e32 v14, 0x80000000, v3
	v_mov_b32_e32 v15, v2
	v_mad_u64_u32 v[16:17], s[8:9], s0, v8, 0
	v_pk_mul_f32 v[14:15], v[10:11], v[14:15] op_sel:[1,0]
	v_add3_u32 v17, v17, v7, v9
	v_lshl_add_u64 v[8:9], v[16:17], 3, v[12:13]
	v_pk_fma_f32 v[10:11], v[2:3], v[10:11], v[14:15] op_sel_hi:[1,0,1]
	global_store_dwordx2 v[8:9], v[10:11], off
.LBB7_38:
	s_or_b64 exec, exec, s[6:7]
	s_and_b64 exec, exec, s[4:5]
	s_cbranch_execz .LBB7_43
; %bb.39:
	v_ashrrev_i32_e32 v7, 31, v6
	s_waitcnt lgkmcnt(0)
	v_mul_lo_u32 v8, s1, v6
	v_mul_lo_u32 v7, s0, v7
	s_and_saveexec_b64 s[4:5], s[2:3]
	s_xor_b64 s[2:3], exec, s[4:5]
	s_cbranch_execz .LBB7_41
; %bb.40:
	v_mad_u64_u32 v[10:11], s[4:5], s0, v6, 0
	v_add3_u32 v11, v11, v7, v8
	v_lshl_add_u64 v[6:7], v[10:11], 3, v[12:13]
	global_load_dwordx2 v[8:9], v[6:7], off
	v_xor_b32_e32 v10, 0x80000000, v3
	v_mov_b32_e32 v11, v2
	v_pk_mul_f32 v[10:11], v[0:1], v[10:11] op_sel:[1,0]
	v_xor_b32_e32 v12, 0x80000000, v5
	v_pk_fma_f32 v[0:1], v[2:3], v[0:1], v[10:11] op_sel_hi:[1,0,1]
	v_mov_b32_e32 v13, v4
                                        ; implicit-def: $vgpr2_vgpr3
	s_waitcnt vmcnt(0)
	v_pk_fma_f32 v[0:1], v[4:5], v[8:9], v[0:1] op_sel_hi:[1,0,1]
	s_nop 0
	v_pk_fma_f32 v[0:1], v[12:13], v[8:9], v[0:1] op_sel:[0,1,0]
	global_store_dwordx2 v[6:7], v[0:1], off
                                        ; implicit-def: $vgpr0_vgpr1
                                        ; implicit-def: $vgpr6
                                        ; implicit-def: $vgpr7
                                        ; implicit-def: $vgpr8
                                        ; implicit-def: $vgpr12_vgpr13
.LBB7_41:
	s_andn2_saveexec_b64 s[2:3], s[2:3]
	s_cbranch_execz .LBB7_43
; %bb.42:
	v_xor_b32_e32 v4, 0x80000000, v3
	v_mov_b32_e32 v5, v2
	v_mad_u64_u32 v[10:11], s[0:1], s0, v6, 0
	v_pk_mul_f32 v[4:5], v[0:1], v[4:5] op_sel:[1,0]
	v_add3_u32 v11, v11, v7, v8
	v_lshl_add_u64 v[6:7], v[10:11], 3, v[12:13]
	v_pk_fma_f32 v[0:1], v[2:3], v[0:1], v[4:5] op_sel_hi:[1,0,1]
	global_store_dwordx2 v[6:7], v[0:1], off
.LBB7_43:
	s_endpgm
	.section	.rodata,"a",@progbits
	.p2align	6, 0x0
	.amdhsa_kernel _ZN9rocsparseL33gebsrmm_large_blockdim_kernel_extILi16ELi16ELi2E21rocsparse_complex_numIfEEEv20rocsparse_direction_20rocsparse_operation_iiNS_24const_host_device_scalarIT2_EEPKiS9_PKS6_iiSB_lS7_PS6_l21rocsparse_index_base_b
		.amdhsa_group_segment_fixed_size 6144
		.amdhsa_private_segment_fixed_size 0
		.amdhsa_kernarg_size 104
		.amdhsa_user_sgpr_count 2
		.amdhsa_user_sgpr_dispatch_ptr 0
		.amdhsa_user_sgpr_queue_ptr 0
		.amdhsa_user_sgpr_kernarg_segment_ptr 1
		.amdhsa_user_sgpr_dispatch_id 0
		.amdhsa_user_sgpr_kernarg_preload_length 0
		.amdhsa_user_sgpr_kernarg_preload_offset 0
		.amdhsa_user_sgpr_private_segment_size 0
		.amdhsa_uses_dynamic_stack 0
		.amdhsa_enable_private_segment 0
		.amdhsa_system_sgpr_workgroup_id_x 1
		.amdhsa_system_sgpr_workgroup_id_y 1
		.amdhsa_system_sgpr_workgroup_id_z 0
		.amdhsa_system_sgpr_workgroup_info 0
		.amdhsa_system_vgpr_workitem_id 1
		.amdhsa_next_free_vgpr 32
		.amdhsa_next_free_sgpr 50
		.amdhsa_accum_offset 32
		.amdhsa_reserve_vcc 1
		.amdhsa_float_round_mode_32 0
		.amdhsa_float_round_mode_16_64 0
		.amdhsa_float_denorm_mode_32 3
		.amdhsa_float_denorm_mode_16_64 3
		.amdhsa_dx10_clamp 1
		.amdhsa_ieee_mode 1
		.amdhsa_fp16_overflow 0
		.amdhsa_tg_split 0
		.amdhsa_exception_fp_ieee_invalid_op 0
		.amdhsa_exception_fp_denorm_src 0
		.amdhsa_exception_fp_ieee_div_zero 0
		.amdhsa_exception_fp_ieee_overflow 0
		.amdhsa_exception_fp_ieee_underflow 0
		.amdhsa_exception_fp_ieee_inexact 0
		.amdhsa_exception_int_div_zero 0
	.end_amdhsa_kernel
	.section	.text._ZN9rocsparseL33gebsrmm_large_blockdim_kernel_extILi16ELi16ELi2E21rocsparse_complex_numIfEEEv20rocsparse_direction_20rocsparse_operation_iiNS_24const_host_device_scalarIT2_EEPKiS9_PKS6_iiSB_lS7_PS6_l21rocsparse_index_base_b,"axG",@progbits,_ZN9rocsparseL33gebsrmm_large_blockdim_kernel_extILi16ELi16ELi2E21rocsparse_complex_numIfEEEv20rocsparse_direction_20rocsparse_operation_iiNS_24const_host_device_scalarIT2_EEPKiS9_PKS6_iiSB_lS7_PS6_l21rocsparse_index_base_b,comdat
.Lfunc_end7:
	.size	_ZN9rocsparseL33gebsrmm_large_blockdim_kernel_extILi16ELi16ELi2E21rocsparse_complex_numIfEEEv20rocsparse_direction_20rocsparse_operation_iiNS_24const_host_device_scalarIT2_EEPKiS9_PKS6_iiSB_lS7_PS6_l21rocsparse_index_base_b, .Lfunc_end7-_ZN9rocsparseL33gebsrmm_large_blockdim_kernel_extILi16ELi16ELi2E21rocsparse_complex_numIfEEEv20rocsparse_direction_20rocsparse_operation_iiNS_24const_host_device_scalarIT2_EEPKiS9_PKS6_iiSB_lS7_PS6_l21rocsparse_index_base_b
                                        ; -- End function
	.set _ZN9rocsparseL33gebsrmm_large_blockdim_kernel_extILi16ELi16ELi2E21rocsparse_complex_numIfEEEv20rocsparse_direction_20rocsparse_operation_iiNS_24const_host_device_scalarIT2_EEPKiS9_PKS6_iiSB_lS7_PS6_l21rocsparse_index_base_b.num_vgpr, 32
	.set _ZN9rocsparseL33gebsrmm_large_blockdim_kernel_extILi16ELi16ELi2E21rocsparse_complex_numIfEEEv20rocsparse_direction_20rocsparse_operation_iiNS_24const_host_device_scalarIT2_EEPKiS9_PKS6_iiSB_lS7_PS6_l21rocsparse_index_base_b.num_agpr, 0
	.set _ZN9rocsparseL33gebsrmm_large_blockdim_kernel_extILi16ELi16ELi2E21rocsparse_complex_numIfEEEv20rocsparse_direction_20rocsparse_operation_iiNS_24const_host_device_scalarIT2_EEPKiS9_PKS6_iiSB_lS7_PS6_l21rocsparse_index_base_b.numbered_sgpr, 50
	.set _ZN9rocsparseL33gebsrmm_large_blockdim_kernel_extILi16ELi16ELi2E21rocsparse_complex_numIfEEEv20rocsparse_direction_20rocsparse_operation_iiNS_24const_host_device_scalarIT2_EEPKiS9_PKS6_iiSB_lS7_PS6_l21rocsparse_index_base_b.num_named_barrier, 0
	.set _ZN9rocsparseL33gebsrmm_large_blockdim_kernel_extILi16ELi16ELi2E21rocsparse_complex_numIfEEEv20rocsparse_direction_20rocsparse_operation_iiNS_24const_host_device_scalarIT2_EEPKiS9_PKS6_iiSB_lS7_PS6_l21rocsparse_index_base_b.private_seg_size, 0
	.set _ZN9rocsparseL33gebsrmm_large_blockdim_kernel_extILi16ELi16ELi2E21rocsparse_complex_numIfEEEv20rocsparse_direction_20rocsparse_operation_iiNS_24const_host_device_scalarIT2_EEPKiS9_PKS6_iiSB_lS7_PS6_l21rocsparse_index_base_b.uses_vcc, 1
	.set _ZN9rocsparseL33gebsrmm_large_blockdim_kernel_extILi16ELi16ELi2E21rocsparse_complex_numIfEEEv20rocsparse_direction_20rocsparse_operation_iiNS_24const_host_device_scalarIT2_EEPKiS9_PKS6_iiSB_lS7_PS6_l21rocsparse_index_base_b.uses_flat_scratch, 0
	.set _ZN9rocsparseL33gebsrmm_large_blockdim_kernel_extILi16ELi16ELi2E21rocsparse_complex_numIfEEEv20rocsparse_direction_20rocsparse_operation_iiNS_24const_host_device_scalarIT2_EEPKiS9_PKS6_iiSB_lS7_PS6_l21rocsparse_index_base_b.has_dyn_sized_stack, 0
	.set _ZN9rocsparseL33gebsrmm_large_blockdim_kernel_extILi16ELi16ELi2E21rocsparse_complex_numIfEEEv20rocsparse_direction_20rocsparse_operation_iiNS_24const_host_device_scalarIT2_EEPKiS9_PKS6_iiSB_lS7_PS6_l21rocsparse_index_base_b.has_recursion, 0
	.set _ZN9rocsparseL33gebsrmm_large_blockdim_kernel_extILi16ELi16ELi2E21rocsparse_complex_numIfEEEv20rocsparse_direction_20rocsparse_operation_iiNS_24const_host_device_scalarIT2_EEPKiS9_PKS6_iiSB_lS7_PS6_l21rocsparse_index_base_b.has_indirect_call, 0
	.section	.AMDGPU.csdata,"",@progbits
; Kernel info:
; codeLenInByte = 1652
; TotalNumSgprs: 56
; NumVgprs: 32
; NumAgprs: 0
; TotalNumVgprs: 32
; ScratchSize: 0
; MemoryBound: 0
; FloatMode: 240
; IeeeMode: 1
; LDSByteSize: 6144 bytes/workgroup (compile time only)
; SGPRBlocks: 6
; VGPRBlocks: 3
; NumSGPRsForWavesPerEU: 56
; NumVGPRsForWavesPerEU: 32
; AccumOffset: 32
; Occupancy: 8
; WaveLimiterHint : 1
; COMPUTE_PGM_RSRC2:SCRATCH_EN: 0
; COMPUTE_PGM_RSRC2:USER_SGPR: 2
; COMPUTE_PGM_RSRC2:TRAP_HANDLER: 0
; COMPUTE_PGM_RSRC2:TGID_X_EN: 1
; COMPUTE_PGM_RSRC2:TGID_Y_EN: 1
; COMPUTE_PGM_RSRC2:TGID_Z_EN: 0
; COMPUTE_PGM_RSRC2:TIDIG_COMP_CNT: 1
; COMPUTE_PGM_RSRC3_GFX90A:ACCUM_OFFSET: 7
; COMPUTE_PGM_RSRC3_GFX90A:TG_SPLIT: 0
	.section	.text._ZN9rocsparseL33gebsrmm_large_blockdim_kernel_extILi32ELi32ELi2E21rocsparse_complex_numIfEEEv20rocsparse_direction_20rocsparse_operation_iiNS_24const_host_device_scalarIT2_EEPKiS9_PKS6_iiSB_lS7_PS6_l21rocsparse_index_base_b,"axG",@progbits,_ZN9rocsparseL33gebsrmm_large_blockdim_kernel_extILi32ELi32ELi2E21rocsparse_complex_numIfEEEv20rocsparse_direction_20rocsparse_operation_iiNS_24const_host_device_scalarIT2_EEPKiS9_PKS6_iiSB_lS7_PS6_l21rocsparse_index_base_b,comdat
	.globl	_ZN9rocsparseL33gebsrmm_large_blockdim_kernel_extILi32ELi32ELi2E21rocsparse_complex_numIfEEEv20rocsparse_direction_20rocsparse_operation_iiNS_24const_host_device_scalarIT2_EEPKiS9_PKS6_iiSB_lS7_PS6_l21rocsparse_index_base_b ; -- Begin function _ZN9rocsparseL33gebsrmm_large_blockdim_kernel_extILi32ELi32ELi2E21rocsparse_complex_numIfEEEv20rocsparse_direction_20rocsparse_operation_iiNS_24const_host_device_scalarIT2_EEPKiS9_PKS6_iiSB_lS7_PS6_l21rocsparse_index_base_b
	.p2align	8
	.type	_ZN9rocsparseL33gebsrmm_large_blockdim_kernel_extILi32ELi32ELi2E21rocsparse_complex_numIfEEEv20rocsparse_direction_20rocsparse_operation_iiNS_24const_host_device_scalarIT2_EEPKiS9_PKS6_iiSB_lS7_PS6_l21rocsparse_index_base_b,@function
_ZN9rocsparseL33gebsrmm_large_blockdim_kernel_extILi32ELi32ELi2E21rocsparse_complex_numIfEEEv20rocsparse_direction_20rocsparse_operation_iiNS_24const_host_device_scalarIT2_EEPKiS9_PKS6_iiSB_lS7_PS6_l21rocsparse_index_base_b: ; @_ZN9rocsparseL33gebsrmm_large_blockdim_kernel_extILi32ELi32ELi2E21rocsparse_complex_numIfEEEv20rocsparse_direction_20rocsparse_operation_iiNS_24const_host_device_scalarIT2_EEPKiS9_PKS6_iiSB_lS7_PS6_l21rocsparse_index_base_b
; %bb.0:
	s_load_dwordx2 s[4:5], s[0:1], 0x10
	s_load_dwordx4 s[16:19], s[0:1], 0x40
	s_load_dwordx2 s[28:29], s[0:1], 0x60
	s_add_u32 s6, s0, 16
	s_addc_u32 s7, s1, 0
	s_add_u32 s8, s0, 0x48
	s_addc_u32 s9, s1, 0
	s_waitcnt lgkmcnt(0)
	s_bitcmp1_b32 s29, 0
	s_cselect_b32 s5, s7, s5
	s_cselect_b32 s4, s6, s4
	v_mov_b32_e32 v2, s4
	v_mov_b32_e32 v3, s5
	s_cselect_b32 s4, s9, s19
	s_cselect_b32 s5, s8, s18
	v_mov_b32_e32 v4, s5
	v_mov_b32_e32 v5, s4
	flat_load_dwordx2 v[2:3], v[2:3]
	s_mov_b32 s34, 0
	flat_load_dwordx2 v[4:5], v[4:5]
	s_waitcnt vmcnt(0) lgkmcnt(0)
	v_cmp_eq_f32_e32 vcc, 0, v2
	v_cmp_eq_f32_e64 s[4:5], 0, v3
	v_cmp_eq_f32_e64 s[8:9], 1.0, v4
	v_cmp_eq_f32_e64 s[6:7], 0, v5
	s_and_b64 s[4:5], vcc, s[4:5]
	s_and_b64 s[8:9], s[8:9], s[6:7]
	s_and_b64 s[4:5], s[4:5], s[8:9]
	s_xor_b64 s[4:5], s[4:5], -1
	s_and_saveexec_b64 s[8:9], s[4:5]
	s_cbranch_execz .LBB8_43
; %bb.1:
	s_load_dwordx4 s[24:27], s[0:1], 0x0
	s_mov_b32 s29, 0
	s_waitcnt lgkmcnt(0)
	s_cmp_lt_i32 s2, s26
	s_cselect_b64 s[18:19], -1, 0
	s_cmp_ge_i32 s2, s26
	s_cbranch_scc1 .LBB8_3
; %bb.2:
	s_load_dwordx2 s[8:9], s[0:1], 0x18
	s_mov_b32 s4, s3
	s_ashr_i32 s3, s2, 31
	s_lshl_b64 s[10:11], s[2:3], 2
	s_mov_b32 s3, s4
	s_waitcnt lgkmcnt(0)
	s_add_u32 s4, s8, s10
	s_addc_u32 s5, s9, s11
	s_load_dwordx2 s[8:9], s[4:5], 0x0
	s_waitcnt lgkmcnt(0)
	s_sub_i32 s34, s8, s28
	s_sub_i32 s29, s9, s28
.LBB8_3:
	s_load_dwordx2 s[30:31], s[0:1], 0x50
	s_load_dwordx2 s[36:37], s[0:1], 0x30
	v_bfe_u32 v10, v0, 10, 10
	v_lshl_add_u32 v8, s3, 6, v10
	v_add_u32_e32 v6, 32, v8
	v_and_b32_e32 v12, 0x3ff, v0
	v_cmp_gt_i32_e64 s[8:9], s27, v8
	v_cmp_gt_i32_e64 s[4:5], s27, v6
	s_cmp_ge_i32 s34, s29
	s_waitcnt lgkmcnt(0)
	v_cmp_gt_i32_e64 s[10:11], s36, v12
	s_cbranch_scc1 .LBB8_31
; %bb.4:
	v_cmp_gt_i32_e32 vcc, s37, v10
	s_and_b64 s[38:39], s[10:11], vcc
	v_mov_b32_e32 v0, 0x4000
	s_cmpk_lg_i32 s25, 0x6f
	v_lshlrev_b32_e32 v13, 8, v10
	s_load_dwordx4 s[20:23], s[0:1], 0x20
	s_load_dwordx2 s[26:27], s[0:1], 0x38
	v_lshl_or_b32 v18, v10, 3, v0
	s_cselect_b64 s[14:15], -1, 0
	s_cmp_eq_u32 s24, 0
	v_mad_u64_u32 v[0:1], s[24:25], s36, v10, v[12:13]
	v_mad_u64_u32 v[10:11], s[24:25], s37, v12, v[10:11]
	v_ashrrev_i32_e32 v9, 31, v8
	s_cselect_b64 vcc, -1, 0
	v_ashrrev_i32_e32 v7, 31, v6
	v_mul_lo_u32 v11, s17, v8
	v_mul_lo_u32 v16, s16, v9
	v_mad_u64_u32 v[14:15], s[24:25], s16, v8, 0
	s_cmp_gt_i32 s37, 0
	v_add3_u32 v15, v15, v16, v11
	v_mul_lo_u32 v11, s17, v6
	v_mul_lo_u32 v20, s16, v7
	v_mad_u64_u32 v[16:17], s[24:25], s16, v6, 0
	v_cndmask_b32_e32 v24, v0, v10, vcc
	v_mov_b32_e32 v10, 0
	v_lshlrev_b32_e32 v19, 3, v12
	v_lshlrev_b32_e32 v1, 8, v12
	s_cselect_b64 s[40:41], -1, 0
	v_add3_u32 v17, v17, v20, v11
	v_mov_b32_e32 v11, v10
	v_cndmask_b32_e64 v0, 0, 1, s[14:15]
	s_mul_i32 s3, s37, s36
	v_cmp_gt_i32_e64 s[12:13], s37, v12
	s_and_b64 s[24:25], s[8:9], s[40:41]
	s_and_b64 s[40:41], s[4:5], s[40:41]
	v_add_u32_e32 v25, 0x4000, v1
	v_add_u32_e32 v26, 0x2000, v13
	v_cmp_ne_u32_e64 s[14:15], 1, v0
	v_add_u32_e32 v27, v19, v13
	v_add_u32_e32 v28, v18, v1
	v_mov_b64_e32 v[0:1], v[10:11]
	s_branch .LBB8_7
.LBB8_5:                                ;   in Loop: Header=BB8_7 Depth=1
	s_or_b64 exec, exec, s[44:45]
.LBB8_6:                                ;   in Loop: Header=BB8_7 Depth=1
	s_or_b64 exec, exec, s[42:43]
	s_add_i32 s34, s34, 1
	s_cmp_ge_i32 s34, s29
	s_barrier
	s_cbranch_scc1 .LBB8_32
.LBB8_7:                                ; =>This Loop Header: Depth=1
                                        ;     Child Loop BB8_27 Depth 2
                                        ;     Child Loop BB8_30 Depth 2
	s_and_saveexec_b64 s[42:43], s[12:13]
	s_cbranch_execz .LBB8_22
; %bb.8:                                ;   in Loop: Header=BB8_7 Depth=1
	s_ashr_i32 s35, s34, 31
	s_lshl_b64 s[44:45], s[34:35], 2
	s_waitcnt lgkmcnt(0)
	s_add_u32 s44, s20, s44
	s_addc_u32 s45, s21, s45
	s_load_dword s33, s[44:45], 0x0
	s_and_b64 vcc, exec, s[14:15]
	s_waitcnt lgkmcnt(0)
	s_sub_i32 s33, s33, s28
	s_mul_i32 s33, s33, s37
	v_add_u32_e32 v18, s33, v12
	v_ashrrev_i32_e32 v19, 31, v18
	s_cbranch_vccnz .LBB8_14
; %bb.9:                                ;   in Loop: Header=BB8_7 Depth=1
	v_mul_lo_u32 v22, s17, v18
	v_mul_lo_u32 v23, s16, v19
	v_mad_u64_u32 v[20:21], s[44:45], s16, v18, 0
	v_add3_u32 v21, v21, v23, v22
	v_lshl_add_u64 v[22:23], v[20:21], 3, s[26:27]
	s_and_saveexec_b64 s[44:45], s[8:9]
	s_cbranch_execz .LBB8_11
; %bb.10:                               ;   in Loop: Header=BB8_7 Depth=1
	v_lshl_add_u64 v[20:21], v[8:9], 3, v[22:23]
	global_load_dwordx2 v[20:21], v[20:21], off
	s_waitcnt vmcnt(0)
	ds_write_b64 v27, v[20:21]
.LBB8_11:                               ;   in Loop: Header=BB8_7 Depth=1
	s_or_b64 exec, exec, s[44:45]
	s_mov_b64 s[46:47], 0
	s_mov_b64 s[44:45], 0
                                        ; implicit-def: $vgpr20_vgpr21
	s_and_saveexec_b64 s[48:49], s[4:5]
	s_xor_b64 s[48:49], exec, s[48:49]
; %bb.12:                               ;   in Loop: Header=BB8_7 Depth=1
	s_mov_b64 s[44:45], exec
	v_lshl_add_u64 v[20:21], v[6:7], 3, v[22:23]
; %bb.13:                               ;   in Loop: Header=BB8_7 Depth=1
	s_or_b64 exec, exec, s[48:49]
	s_and_b64 vcc, exec, s[46:47]
	s_cbranch_vccnz .LBB8_15
	s_branch .LBB8_20
.LBB8_14:                               ;   in Loop: Header=BB8_7 Depth=1
	s_mov_b64 s[44:45], 0
                                        ; implicit-def: $vgpr20_vgpr21
	s_cbranch_execz .LBB8_20
.LBB8_15:                               ;   in Loop: Header=BB8_7 Depth=1
	v_lshl_add_u64 v[18:19], v[18:19], 3, s[26:27]
	s_and_saveexec_b64 s[46:47], s[8:9]
	s_cbranch_execz .LBB8_17
; %bb.16:                               ;   in Loop: Header=BB8_7 Depth=1
	v_lshl_add_u64 v[20:21], v[14:15], 3, v[18:19]
	global_load_dwordx2 v[20:21], v[20:21], off
	s_waitcnt vmcnt(0)
	ds_write_b64 v27, v[20:21]
.LBB8_17:                               ;   in Loop: Header=BB8_7 Depth=1
	s_or_b64 exec, exec, s[46:47]
                                        ; implicit-def: $vgpr20_vgpr21
	s_and_saveexec_b64 s[46:47], s[4:5]
; %bb.18:                               ;   in Loop: Header=BB8_7 Depth=1
	v_lshl_add_u64 v[20:21], v[16:17], 3, v[18:19]
	s_or_b64 s[44:45], s[44:45], exec
; %bb.19:                               ;   in Loop: Header=BB8_7 Depth=1
	s_or_b64 exec, exec, s[46:47]
.LBB8_20:                               ;   in Loop: Header=BB8_7 Depth=1
	s_and_b64 exec, exec, s[44:45]
	s_cbranch_execz .LBB8_22
; %bb.21:                               ;   in Loop: Header=BB8_7 Depth=1
	global_load_dwordx2 v[18:19], v[20:21], off
	s_waitcnt vmcnt(0)
	ds_write_b64 v27, v[18:19] offset:8192
.LBB8_22:                               ;   in Loop: Header=BB8_7 Depth=1
	s_or_b64 exec, exec, s[42:43]
	s_and_saveexec_b64 s[42:43], s[38:39]
	s_cbranch_execz .LBB8_24
; %bb.23:                               ;   in Loop: Header=BB8_7 Depth=1
	s_mul_i32 s33, s3, s34
	v_add_u32_e32 v18, s33, v24
	v_ashrrev_i32_e32 v19, 31, v18
	s_waitcnt lgkmcnt(0)
	v_lshl_add_u64 v[18:19], v[18:19], 3, s[22:23]
	global_load_dwordx2 v[18:19], v[18:19], off
	s_waitcnt vmcnt(0)
	ds_write_b64 v28, v[18:19]
.LBB8_24:                               ;   in Loop: Header=BB8_7 Depth=1
	s_or_b64 exec, exec, s[42:43]
	s_waitcnt lgkmcnt(0)
	s_barrier
	s_and_saveexec_b64 s[42:43], s[10:11]
	s_cbranch_execz .LBB8_6
; %bb.25:                               ;   in Loop: Header=BB8_7 Depth=1
	s_and_saveexec_b64 s[44:45], s[24:25]
	s_cbranch_execz .LBB8_28
; %bb.26:                               ;   in Loop: Header=BB8_7 Depth=1
	v_mov_b32_e32 v18, v25
	v_mov_b32_e32 v19, v13
	s_mov_b32 s33, s37
.LBB8_27:                               ;   Parent Loop BB8_7 Depth=1
                                        ; =>  This Inner Loop Header: Depth=2
	ds_read_b64 v[20:21], v19
	ds_read_b64 v[22:23], v18
	s_add_i32 s33, s33, -1
	v_add_u32_e32 v19, 8, v19
	v_add_u32_e32 v18, 8, v18
	s_cmp_lg_u32 s33, 0
	s_waitcnt lgkmcnt(0)
	v_xor_b32_e32 v30, 0x80000000, v23
	v_pk_fma_f32 v[10:11], v[22:23], v[20:21], v[10:11] op_sel_hi:[1,0,1]
	v_mov_b32_e32 v31, v22
	v_pk_fma_f32 v[10:11], v[30:31], v[20:21], v[10:11] op_sel:[0,1,0]
	s_cbranch_scc1 .LBB8_27
.LBB8_28:                               ;   in Loop: Header=BB8_7 Depth=1
	s_or_b64 exec, exec, s[44:45]
	s_and_saveexec_b64 s[44:45], s[40:41]
	s_cbranch_execz .LBB8_5
; %bb.29:                               ;   in Loop: Header=BB8_7 Depth=1
	v_mov_b32_e32 v18, v25
	s_mov_b32 s33, s37
	v_mov_b32_e32 v19, v26
.LBB8_30:                               ;   Parent Loop BB8_7 Depth=1
                                        ; =>  This Inner Loop Header: Depth=2
	ds_read_b64 v[20:21], v19
	ds_read_b64 v[22:23], v18
	s_add_i32 s33, s33, -1
	v_add_u32_e32 v19, 8, v19
	v_add_u32_e32 v18, 8, v18
	s_cmp_lg_u32 s33, 0
	s_waitcnt lgkmcnt(0)
	v_xor_b32_e32 v30, 0x80000000, v23
	v_pk_fma_f32 v[0:1], v[22:23], v[20:21], v[0:1] op_sel_hi:[1,0,1]
	v_mov_b32_e32 v31, v22
	v_pk_fma_f32 v[0:1], v[30:31], v[20:21], v[0:1] op_sel:[0,1,0]
	s_cbranch_scc1 .LBB8_30
	s_branch .LBB8_5
.LBB8_31:
	v_mov_b32_e32 v0, 0
	v_mov_b32_e32 v1, v0
	v_mov_b64_e32 v[10:11], v[0:1]
.LBB8_32:
	s_and_b64 s[10:11], s[18:19], s[10:11]
	s_and_b64 exec, exec, s[10:11]
	s_cbranch_execz .LBB8_43
; %bb.33:
	s_load_dwordx2 s[0:1], s[0:1], 0x58
	s_mul_i32 s2, s36, s2
	v_add_u32_e32 v12, s2, v12
	v_cmp_neq_f32_e32 vcc, 0, v4
	s_xor_b64 s[2:3], s[6:7], -1
	v_ashrrev_i32_e32 v13, 31, v12
	s_or_b64 s[2:3], vcc, s[2:3]
	v_lshl_add_u64 v[12:13], v[12:13], 3, s[30:31]
	s_and_saveexec_b64 s[6:7], s[8:9]
	s_cbranch_execz .LBB8_38
; %bb.34:
	v_ashrrev_i32_e32 v7, 31, v8
	s_waitcnt lgkmcnt(0)
	v_mul_lo_u32 v9, s1, v8
	v_mul_lo_u32 v7, s0, v7
	s_and_saveexec_b64 s[8:9], s[2:3]
	s_xor_b64 s[8:9], exec, s[8:9]
	s_cbranch_execz .LBB8_36
; %bb.35:
	v_mad_u64_u32 v[14:15], s[10:11], s0, v8, 0
	v_add3_u32 v15, v15, v7, v9
	v_lshl_add_u64 v[8:9], v[14:15], 3, v[12:13]
	global_load_dwordx2 v[14:15], v[8:9], off
	v_xor_b32_e32 v16, 0x80000000, v3
	v_mov_b32_e32 v17, v2
	v_pk_mul_f32 v[16:17], v[10:11], v[16:17] op_sel:[1,0]
	v_xor_b32_e32 v18, 0x80000000, v5
	v_pk_fma_f32 v[10:11], v[2:3], v[10:11], v[16:17] op_sel_hi:[1,0,1]
	v_mov_b32_e32 v19, v4
                                        ; implicit-def: $vgpr7
	s_waitcnt vmcnt(0)
	v_pk_fma_f32 v[10:11], v[4:5], v[14:15], v[10:11] op_sel_hi:[1,0,1]
	s_nop 0
	v_pk_fma_f32 v[10:11], v[18:19], v[14:15], v[10:11] op_sel:[0,1,0]
	global_store_dwordx2 v[8:9], v[10:11], off
                                        ; implicit-def: $vgpr10_vgpr11
                                        ; implicit-def: $vgpr8
                                        ; implicit-def: $vgpr9
.LBB8_36:
	s_andn2_saveexec_b64 s[8:9], s[8:9]
	s_cbranch_execz .LBB8_38
; %bb.37:
	v_xor_b32_e32 v14, 0x80000000, v3
	v_mov_b32_e32 v15, v2
	v_mad_u64_u32 v[16:17], s[8:9], s0, v8, 0
	v_pk_mul_f32 v[14:15], v[10:11], v[14:15] op_sel:[1,0]
	v_add3_u32 v17, v17, v7, v9
	v_lshl_add_u64 v[8:9], v[16:17], 3, v[12:13]
	v_pk_fma_f32 v[10:11], v[2:3], v[10:11], v[14:15] op_sel_hi:[1,0,1]
	global_store_dwordx2 v[8:9], v[10:11], off
.LBB8_38:
	s_or_b64 exec, exec, s[6:7]
	s_and_b64 exec, exec, s[4:5]
	s_cbranch_execz .LBB8_43
; %bb.39:
	v_ashrrev_i32_e32 v7, 31, v6
	s_waitcnt lgkmcnt(0)
	v_mul_lo_u32 v8, s1, v6
	v_mul_lo_u32 v7, s0, v7
	s_and_saveexec_b64 s[4:5], s[2:3]
	s_xor_b64 s[2:3], exec, s[4:5]
	s_cbranch_execz .LBB8_41
; %bb.40:
	v_mad_u64_u32 v[10:11], s[4:5], s0, v6, 0
	v_add3_u32 v11, v11, v7, v8
	v_lshl_add_u64 v[6:7], v[10:11], 3, v[12:13]
	global_load_dwordx2 v[8:9], v[6:7], off
	v_xor_b32_e32 v10, 0x80000000, v3
	v_mov_b32_e32 v11, v2
	v_pk_mul_f32 v[10:11], v[0:1], v[10:11] op_sel:[1,0]
	v_xor_b32_e32 v12, 0x80000000, v5
	v_pk_fma_f32 v[0:1], v[2:3], v[0:1], v[10:11] op_sel_hi:[1,0,1]
	v_mov_b32_e32 v13, v4
                                        ; implicit-def: $vgpr2_vgpr3
	s_waitcnt vmcnt(0)
	v_pk_fma_f32 v[0:1], v[4:5], v[8:9], v[0:1] op_sel_hi:[1,0,1]
	s_nop 0
	v_pk_fma_f32 v[0:1], v[12:13], v[8:9], v[0:1] op_sel:[0,1,0]
	global_store_dwordx2 v[6:7], v[0:1], off
                                        ; implicit-def: $vgpr0_vgpr1
                                        ; implicit-def: $vgpr6
                                        ; implicit-def: $vgpr7
                                        ; implicit-def: $vgpr8
                                        ; implicit-def: $vgpr12_vgpr13
.LBB8_41:
	s_andn2_saveexec_b64 s[2:3], s[2:3]
	s_cbranch_execz .LBB8_43
; %bb.42:
	v_xor_b32_e32 v4, 0x80000000, v3
	v_mov_b32_e32 v5, v2
	v_mad_u64_u32 v[10:11], s[0:1], s0, v6, 0
	v_pk_mul_f32 v[4:5], v[0:1], v[4:5] op_sel:[1,0]
	v_add3_u32 v11, v11, v7, v8
	v_lshl_add_u64 v[6:7], v[10:11], 3, v[12:13]
	v_pk_fma_f32 v[0:1], v[2:3], v[0:1], v[4:5] op_sel_hi:[1,0,1]
	global_store_dwordx2 v[6:7], v[0:1], off
.LBB8_43:
	s_endpgm
	.section	.rodata,"a",@progbits
	.p2align	6, 0x0
	.amdhsa_kernel _ZN9rocsparseL33gebsrmm_large_blockdim_kernel_extILi32ELi32ELi2E21rocsparse_complex_numIfEEEv20rocsparse_direction_20rocsparse_operation_iiNS_24const_host_device_scalarIT2_EEPKiS9_PKS6_iiSB_lS7_PS6_l21rocsparse_index_base_b
		.amdhsa_group_segment_fixed_size 24576
		.amdhsa_private_segment_fixed_size 0
		.amdhsa_kernarg_size 104
		.amdhsa_user_sgpr_count 2
		.amdhsa_user_sgpr_dispatch_ptr 0
		.amdhsa_user_sgpr_queue_ptr 0
		.amdhsa_user_sgpr_kernarg_segment_ptr 1
		.amdhsa_user_sgpr_dispatch_id 0
		.amdhsa_user_sgpr_kernarg_preload_length 0
		.amdhsa_user_sgpr_kernarg_preload_offset 0
		.amdhsa_user_sgpr_private_segment_size 0
		.amdhsa_uses_dynamic_stack 0
		.amdhsa_enable_private_segment 0
		.amdhsa_system_sgpr_workgroup_id_x 1
		.amdhsa_system_sgpr_workgroup_id_y 1
		.amdhsa_system_sgpr_workgroup_id_z 0
		.amdhsa_system_sgpr_workgroup_info 0
		.amdhsa_system_vgpr_workitem_id 1
		.amdhsa_next_free_vgpr 32
		.amdhsa_next_free_sgpr 50
		.amdhsa_accum_offset 32
		.amdhsa_reserve_vcc 1
		.amdhsa_float_round_mode_32 0
		.amdhsa_float_round_mode_16_64 0
		.amdhsa_float_denorm_mode_32 3
		.amdhsa_float_denorm_mode_16_64 3
		.amdhsa_dx10_clamp 1
		.amdhsa_ieee_mode 1
		.amdhsa_fp16_overflow 0
		.amdhsa_tg_split 0
		.amdhsa_exception_fp_ieee_invalid_op 0
		.amdhsa_exception_fp_denorm_src 0
		.amdhsa_exception_fp_ieee_div_zero 0
		.amdhsa_exception_fp_ieee_overflow 0
		.amdhsa_exception_fp_ieee_underflow 0
		.amdhsa_exception_fp_ieee_inexact 0
		.amdhsa_exception_int_div_zero 0
	.end_amdhsa_kernel
	.section	.text._ZN9rocsparseL33gebsrmm_large_blockdim_kernel_extILi32ELi32ELi2E21rocsparse_complex_numIfEEEv20rocsparse_direction_20rocsparse_operation_iiNS_24const_host_device_scalarIT2_EEPKiS9_PKS6_iiSB_lS7_PS6_l21rocsparse_index_base_b,"axG",@progbits,_ZN9rocsparseL33gebsrmm_large_blockdim_kernel_extILi32ELi32ELi2E21rocsparse_complex_numIfEEEv20rocsparse_direction_20rocsparse_operation_iiNS_24const_host_device_scalarIT2_EEPKiS9_PKS6_iiSB_lS7_PS6_l21rocsparse_index_base_b,comdat
.Lfunc_end8:
	.size	_ZN9rocsparseL33gebsrmm_large_blockdim_kernel_extILi32ELi32ELi2E21rocsparse_complex_numIfEEEv20rocsparse_direction_20rocsparse_operation_iiNS_24const_host_device_scalarIT2_EEPKiS9_PKS6_iiSB_lS7_PS6_l21rocsparse_index_base_b, .Lfunc_end8-_ZN9rocsparseL33gebsrmm_large_blockdim_kernel_extILi32ELi32ELi2E21rocsparse_complex_numIfEEEv20rocsparse_direction_20rocsparse_operation_iiNS_24const_host_device_scalarIT2_EEPKiS9_PKS6_iiSB_lS7_PS6_l21rocsparse_index_base_b
                                        ; -- End function
	.set _ZN9rocsparseL33gebsrmm_large_blockdim_kernel_extILi32ELi32ELi2E21rocsparse_complex_numIfEEEv20rocsparse_direction_20rocsparse_operation_iiNS_24const_host_device_scalarIT2_EEPKiS9_PKS6_iiSB_lS7_PS6_l21rocsparse_index_base_b.num_vgpr, 32
	.set _ZN9rocsparseL33gebsrmm_large_blockdim_kernel_extILi32ELi32ELi2E21rocsparse_complex_numIfEEEv20rocsparse_direction_20rocsparse_operation_iiNS_24const_host_device_scalarIT2_EEPKiS9_PKS6_iiSB_lS7_PS6_l21rocsparse_index_base_b.num_agpr, 0
	.set _ZN9rocsparseL33gebsrmm_large_blockdim_kernel_extILi32ELi32ELi2E21rocsparse_complex_numIfEEEv20rocsparse_direction_20rocsparse_operation_iiNS_24const_host_device_scalarIT2_EEPKiS9_PKS6_iiSB_lS7_PS6_l21rocsparse_index_base_b.numbered_sgpr, 50
	.set _ZN9rocsparseL33gebsrmm_large_blockdim_kernel_extILi32ELi32ELi2E21rocsparse_complex_numIfEEEv20rocsparse_direction_20rocsparse_operation_iiNS_24const_host_device_scalarIT2_EEPKiS9_PKS6_iiSB_lS7_PS6_l21rocsparse_index_base_b.num_named_barrier, 0
	.set _ZN9rocsparseL33gebsrmm_large_blockdim_kernel_extILi32ELi32ELi2E21rocsparse_complex_numIfEEEv20rocsparse_direction_20rocsparse_operation_iiNS_24const_host_device_scalarIT2_EEPKiS9_PKS6_iiSB_lS7_PS6_l21rocsparse_index_base_b.private_seg_size, 0
	.set _ZN9rocsparseL33gebsrmm_large_blockdim_kernel_extILi32ELi32ELi2E21rocsparse_complex_numIfEEEv20rocsparse_direction_20rocsparse_operation_iiNS_24const_host_device_scalarIT2_EEPKiS9_PKS6_iiSB_lS7_PS6_l21rocsparse_index_base_b.uses_vcc, 1
	.set _ZN9rocsparseL33gebsrmm_large_blockdim_kernel_extILi32ELi32ELi2E21rocsparse_complex_numIfEEEv20rocsparse_direction_20rocsparse_operation_iiNS_24const_host_device_scalarIT2_EEPKiS9_PKS6_iiSB_lS7_PS6_l21rocsparse_index_base_b.uses_flat_scratch, 0
	.set _ZN9rocsparseL33gebsrmm_large_blockdim_kernel_extILi32ELi32ELi2E21rocsparse_complex_numIfEEEv20rocsparse_direction_20rocsparse_operation_iiNS_24const_host_device_scalarIT2_EEPKiS9_PKS6_iiSB_lS7_PS6_l21rocsparse_index_base_b.has_dyn_sized_stack, 0
	.set _ZN9rocsparseL33gebsrmm_large_blockdim_kernel_extILi32ELi32ELi2E21rocsparse_complex_numIfEEEv20rocsparse_direction_20rocsparse_operation_iiNS_24const_host_device_scalarIT2_EEPKiS9_PKS6_iiSB_lS7_PS6_l21rocsparse_index_base_b.has_recursion, 0
	.set _ZN9rocsparseL33gebsrmm_large_blockdim_kernel_extILi32ELi32ELi2E21rocsparse_complex_numIfEEEv20rocsparse_direction_20rocsparse_operation_iiNS_24const_host_device_scalarIT2_EEPKiS9_PKS6_iiSB_lS7_PS6_l21rocsparse_index_base_b.has_indirect_call, 0
	.section	.AMDGPU.csdata,"",@progbits
; Kernel info:
; codeLenInByte = 1652
; TotalNumSgprs: 56
; NumVgprs: 32
; NumAgprs: 0
; TotalNumVgprs: 32
; ScratchSize: 0
; MemoryBound: 0
; FloatMode: 240
; IeeeMode: 1
; LDSByteSize: 24576 bytes/workgroup (compile time only)
; SGPRBlocks: 6
; VGPRBlocks: 3
; NumSGPRsForWavesPerEU: 56
; NumVGPRsForWavesPerEU: 32
; AccumOffset: 32
; Occupancy: 8
; WaveLimiterHint : 1
; COMPUTE_PGM_RSRC2:SCRATCH_EN: 0
; COMPUTE_PGM_RSRC2:USER_SGPR: 2
; COMPUTE_PGM_RSRC2:TRAP_HANDLER: 0
; COMPUTE_PGM_RSRC2:TGID_X_EN: 1
; COMPUTE_PGM_RSRC2:TGID_Y_EN: 1
; COMPUTE_PGM_RSRC2:TGID_Z_EN: 0
; COMPUTE_PGM_RSRC2:TIDIG_COMP_CNT: 1
; COMPUTE_PGM_RSRC3_GFX90A:ACCUM_OFFSET: 7
; COMPUTE_PGM_RSRC3_GFX90A:TG_SPLIT: 0
	.section	.text._ZN9rocsparseL33gebsrmm_large_blockdim_kernel_extILi8ELi8ELi2E21rocsparse_complex_numIdEEEv20rocsparse_direction_20rocsparse_operation_iiNS_24const_host_device_scalarIT2_EEPKiS9_PKS6_iiSB_lS7_PS6_l21rocsparse_index_base_b,"axG",@progbits,_ZN9rocsparseL33gebsrmm_large_blockdim_kernel_extILi8ELi8ELi2E21rocsparse_complex_numIdEEEv20rocsparse_direction_20rocsparse_operation_iiNS_24const_host_device_scalarIT2_EEPKiS9_PKS6_iiSB_lS7_PS6_l21rocsparse_index_base_b,comdat
	.globl	_ZN9rocsparseL33gebsrmm_large_blockdim_kernel_extILi8ELi8ELi2E21rocsparse_complex_numIdEEEv20rocsparse_direction_20rocsparse_operation_iiNS_24const_host_device_scalarIT2_EEPKiS9_PKS6_iiSB_lS7_PS6_l21rocsparse_index_base_b ; -- Begin function _ZN9rocsparseL33gebsrmm_large_blockdim_kernel_extILi8ELi8ELi2E21rocsparse_complex_numIdEEEv20rocsparse_direction_20rocsparse_operation_iiNS_24const_host_device_scalarIT2_EEPKiS9_PKS6_iiSB_lS7_PS6_l21rocsparse_index_base_b
	.p2align	8
	.type	_ZN9rocsparseL33gebsrmm_large_blockdim_kernel_extILi8ELi8ELi2E21rocsparse_complex_numIdEEEv20rocsparse_direction_20rocsparse_operation_iiNS_24const_host_device_scalarIT2_EEPKiS9_PKS6_iiSB_lS7_PS6_l21rocsparse_index_base_b,@function
_ZN9rocsparseL33gebsrmm_large_blockdim_kernel_extILi8ELi8ELi2E21rocsparse_complex_numIdEEEv20rocsparse_direction_20rocsparse_operation_iiNS_24const_host_device_scalarIT2_EEPKiS9_PKS6_iiSB_lS7_PS6_l21rocsparse_index_base_b: ; @_ZN9rocsparseL33gebsrmm_large_blockdim_kernel_extILi8ELi8ELi2E21rocsparse_complex_numIdEEEv20rocsparse_direction_20rocsparse_operation_iiNS_24const_host_device_scalarIT2_EEPKiS9_PKS6_iiSB_lS7_PS6_l21rocsparse_index_base_b
; %bb.0:
	s_load_dwordx2 s[4:5], s[0:1], 0x10
	s_load_dwordx4 s[16:19], s[0:1], 0x48
	s_load_dwordx2 s[24:25], s[0:1], 0x70
	s_add_u32 s6, s0, 16
	s_addc_u32 s7, s1, 0
	s_add_u32 s8, s0, 0x50
	s_addc_u32 s9, s1, 0
	s_waitcnt lgkmcnt(0)
	s_bitcmp1_b32 s25, 0
	s_cselect_b32 s5, s7, s5
	s_cselect_b32 s4, s6, s4
	v_mov_b32_e32 v2, s4
	v_mov_b32_e32 v3, s5
	flat_load_dwordx4 v[6:9], v[2:3]
	s_cselect_b32 s4, s9, s19
	s_cselect_b32 s5, s8, s18
	v_mov_b32_e32 v2, s5
	v_mov_b32_e32 v3, s4
	flat_load_dwordx4 v[2:5], v[2:3]
	s_waitcnt vmcnt(0) lgkmcnt(0)
	v_cmp_eq_f64_e32 vcc, 0, v[6:7]
	v_cmp_eq_f64_e64 s[4:5], 0, v[8:9]
	s_and_b64 s[8:9], vcc, s[4:5]
	s_mov_b64 s[4:5], -1
	s_and_saveexec_b64 s[6:7], s[8:9]
; %bb.1:
	v_cmp_neq_f64_e32 vcc, 1.0, v[2:3]
	v_cmp_neq_f64_e64 s[4:5], 0, v[4:5]
	s_or_b64 s[4:5], vcc, s[4:5]
	s_orn2_b64 s[4:5], s[4:5], exec
; %bb.2:
	s_or_b64 exec, exec, s[6:7]
	s_and_saveexec_b64 s[6:7], s[4:5]
	s_cbranch_execz .LBB9_44
; %bb.3:
	s_load_dwordx4 s[12:15], s[0:1], 0x0
	s_mov_b32 s30, 0
	s_mov_b32 s25, 0
	s_waitcnt lgkmcnt(0)
	s_cmp_lt_i32 s2, s14
	s_cselect_b64 s[18:19], -1, 0
	s_cmp_ge_i32 s2, s14
	s_cbranch_scc1 .LBB9_5
; %bb.4:
	s_load_dwordx2 s[6:7], s[0:1], 0x20
	s_mov_b32 s4, s3
	s_ashr_i32 s3, s2, 31
	s_lshl_b64 s[8:9], s[2:3], 2
	s_mov_b32 s3, s4
	s_waitcnt lgkmcnt(0)
	s_add_u32 s4, s6, s8
	s_addc_u32 s5, s7, s9
	s_load_dwordx2 s[6:7], s[4:5], 0x0
	s_waitcnt lgkmcnt(0)
	s_sub_i32 s30, s6, s24
	s_sub_i32 s25, s7, s24
.LBB9_5:
	s_load_dwordx2 s[26:27], s[0:1], 0x60
	s_load_dwordx2 s[28:29], s[0:1], 0x38
	v_bfe_u32 v22, v0, 10, 10
	v_lshl_add_u32 v16, s3, 4, v22
	v_add_u32_e32 v14, 8, v16
	v_and_b32_e32 v10, 0x3ff, v0
	v_cmp_gt_i32_e64 s[6:7], s15, v16
	v_cmp_gt_i32_e64 s[4:5], s15, v14
	s_waitcnt lgkmcnt(0)
	v_cmp_gt_i32_e64 s[8:9], s28, v10
	v_mov_b64_e32 v[18:19], 0
	s_cmp_ge_i32 s30, s25
	v_mov_b64_e32 v[0:1], 0
	v_mov_b64_e32 v[12:13], 0
	;; [unrolled: 1-line block ×3, first 2 shown]
	s_cbranch_scc1 .LBB9_33
; %bb.6:
	v_cmp_gt_i32_e32 vcc, s29, v22
	s_and_b64 s[34:35], s[8:9], vcc
	s_cmpk_lg_i32 s13, 0x6f
	v_lshlrev_b32_e32 v11, 7, v22
	s_cselect_b64 s[40:41], -1, 0
	s_cmp_eq_u32 s12, 0
	v_mad_u64_u32 v[0:1], s[12:13], s28, v22, v[10:11]
	s_load_dwordx4 s[20:23], s[0:1], 0x28
	s_load_dwordx2 s[14:15], s[0:1], 0x40
	v_mov_b32_e32 v1, 0x800
	v_mad_u64_u32 v[12:13], s[12:13], s29, v10, v[22:23]
	v_lshl_add_u32 v33, v10, 7, v1
	v_ashrrev_i32_e32 v17, 31, v16
	s_cselect_b64 vcc, -1, 0
	v_lshl_add_u32 v34, v22, 4, v33
	s_cmp_gt_i32 s29, 0
	v_ashrrev_i32_e32 v15, 31, v14
	v_mul_lo_u32 v1, s17, v16
	v_mul_lo_u32 v13, s16, v17
	v_mad_u64_u32 v[22:23], s[36:37], s16, v16, 0
	v_lshl_add_u32 v32, v10, 4, v11
	s_cselect_b64 s[12:13], -1, 0
	v_add3_u32 v23, v23, v13, v1
	v_mul_lo_u32 v1, s17, v14
	v_mul_lo_u32 v13, s16, v15
	v_mad_u64_u32 v[24:25], s[36:37], s16, v14, 0
	v_cndmask_b32_e32 v36, v0, v12, vcc
	v_cndmask_b32_e64 v0, 0, 1, s[40:41]
	s_mul_i32 s3, s29, s28
	v_cmp_gt_i32_e64 s[10:11], s29, v10
	v_add_u32_e32 v35, 0x400, v32
	v_add3_u32 v25, v25, v13, v1
	s_and_b64 s[36:37], s[6:7], s[12:13]
	s_and_b64 s[38:39], s[4:5], s[12:13]
	v_add_u32_e32 v37, 0x400, v11
	v_mov_b64_e32 v[20:21], 0
	v_cmp_ne_u32_e64 s[12:13], 1, v0
	v_mov_b64_e32 v[12:13], 0
	v_mov_b64_e32 v[0:1], 0
	;; [unrolled: 1-line block ×3, first 2 shown]
	s_branch .LBB9_9
.LBB9_7:                                ;   in Loop: Header=BB9_9 Depth=1
	s_or_b64 exec, exec, s[42:43]
.LBB9_8:                                ;   in Loop: Header=BB9_9 Depth=1
	s_or_b64 exec, exec, s[40:41]
	s_add_i32 s30, s30, 1
	s_cmp_ge_i32 s30, s25
	; wave barrier
	s_cbranch_scc1 .LBB9_33
.LBB9_9:                                ; =>This Loop Header: Depth=1
                                        ;     Child Loop BB9_29 Depth 2
                                        ;     Child Loop BB9_32 Depth 2
	s_and_saveexec_b64 s[40:41], s[10:11]
	s_cbranch_execz .LBB9_24
; %bb.10:                               ;   in Loop: Header=BB9_9 Depth=1
	s_ashr_i32 s31, s30, 31
	s_lshl_b64 s[42:43], s[30:31], 2
	s_waitcnt lgkmcnt(0)
	s_add_u32 s42, s20, s42
	s_addc_u32 s43, s21, s43
	s_load_dword s31, s[42:43], 0x0
	s_and_b64 vcc, exec, s[12:13]
	s_waitcnt lgkmcnt(0)
	s_sub_i32 s31, s31, s24
	s_mul_i32 s31, s31, s29
	v_add_u32_e32 v26, s31, v10
	v_ashrrev_i32_e32 v27, 31, v26
	s_cbranch_vccnz .LBB9_16
; %bb.11:                               ;   in Loop: Header=BB9_9 Depth=1
	v_mul_lo_u32 v30, s17, v26
	v_mul_lo_u32 v31, s16, v27
	v_mad_u64_u32 v[28:29], s[42:43], s16, v26, 0
	v_add3_u32 v29, v29, v31, v30
	v_lshl_add_u64 v[30:31], v[28:29], 4, s[14:15]
	s_and_saveexec_b64 s[42:43], s[6:7]
	s_cbranch_execz .LBB9_13
; %bb.12:                               ;   in Loop: Header=BB9_9 Depth=1
	v_lshl_add_u64 v[28:29], v[16:17], 4, v[30:31]
	global_load_dwordx4 v[38:41], v[28:29], off
	s_waitcnt vmcnt(0)
	ds_write2_b64 v32, v[38:39], v[40:41] offset1:1
.LBB9_13:                               ;   in Loop: Header=BB9_9 Depth=1
	s_or_b64 exec, exec, s[42:43]
	s_mov_b64 s[44:45], 0
	s_mov_b64 s[42:43], 0
                                        ; implicit-def: $vgpr28_vgpr29
	s_and_saveexec_b64 s[46:47], s[4:5]
	s_xor_b64 s[46:47], exec, s[46:47]
; %bb.14:                               ;   in Loop: Header=BB9_9 Depth=1
	s_mov_b64 s[42:43], exec
	v_lshl_add_u64 v[28:29], v[14:15], 4, v[30:31]
; %bb.15:                               ;   in Loop: Header=BB9_9 Depth=1
	s_or_b64 exec, exec, s[46:47]
	s_and_b64 vcc, exec, s[44:45]
	s_cbranch_vccnz .LBB9_17
	s_branch .LBB9_22
.LBB9_16:                               ;   in Loop: Header=BB9_9 Depth=1
	s_mov_b64 s[42:43], 0
                                        ; implicit-def: $vgpr28_vgpr29
	s_cbranch_execz .LBB9_22
.LBB9_17:                               ;   in Loop: Header=BB9_9 Depth=1
	v_lshl_add_u64 v[26:27], v[26:27], 4, s[14:15]
	s_and_saveexec_b64 s[44:45], s[6:7]
	s_cbranch_execz .LBB9_19
; %bb.18:                               ;   in Loop: Header=BB9_9 Depth=1
	v_lshl_add_u64 v[28:29], v[22:23], 4, v[26:27]
	global_load_dwordx4 v[28:31], v[28:29], off
	s_waitcnt vmcnt(0)
	ds_write2_b64 v32, v[28:29], v[30:31] offset1:1
.LBB9_19:                               ;   in Loop: Header=BB9_9 Depth=1
	s_or_b64 exec, exec, s[44:45]
                                        ; implicit-def: $vgpr28_vgpr29
	s_and_saveexec_b64 s[44:45], s[4:5]
; %bb.20:                               ;   in Loop: Header=BB9_9 Depth=1
	v_lshl_add_u64 v[28:29], v[24:25], 4, v[26:27]
	s_or_b64 s[42:43], s[42:43], exec
; %bb.21:                               ;   in Loop: Header=BB9_9 Depth=1
	s_or_b64 exec, exec, s[44:45]
.LBB9_22:                               ;   in Loop: Header=BB9_9 Depth=1
	s_and_b64 exec, exec, s[42:43]
	s_cbranch_execz .LBB9_24
; %bb.23:                               ;   in Loop: Header=BB9_9 Depth=1
	global_load_dwordx4 v[26:29], v[28:29], off
	s_waitcnt vmcnt(0)
	ds_write2_b64 v35, v[26:27], v[28:29] offset1:1
.LBB9_24:                               ;   in Loop: Header=BB9_9 Depth=1
	s_or_b64 exec, exec, s[40:41]
	s_and_saveexec_b64 s[40:41], s[34:35]
	s_cbranch_execz .LBB9_26
; %bb.25:                               ;   in Loop: Header=BB9_9 Depth=1
	s_mul_i32 s31, s3, s30
	v_add_u32_e32 v26, s31, v36
	v_ashrrev_i32_e32 v27, 31, v26
	s_waitcnt lgkmcnt(0)
	v_lshl_add_u64 v[26:27], v[26:27], 4, s[22:23]
	global_load_dwordx4 v[26:29], v[26:27], off
	s_waitcnt vmcnt(0)
	ds_write2_b64 v34, v[26:27], v[28:29] offset1:1
.LBB9_26:                               ;   in Loop: Header=BB9_9 Depth=1
	s_or_b64 exec, exec, s[40:41]
	s_waitcnt lgkmcnt(0)
	; wave barrier
	s_and_saveexec_b64 s[40:41], s[8:9]
	s_cbranch_execz .LBB9_8
; %bb.27:                               ;   in Loop: Header=BB9_9 Depth=1
	s_and_saveexec_b64 s[42:43], s[36:37]
	s_cbranch_execz .LBB9_30
; %bb.28:                               ;   in Loop: Header=BB9_9 Depth=1
	v_mov_b32_e32 v26, v33
	v_mov_b32_e32 v27, v11
	s_mov_b32 s31, s29
.LBB9_29:                               ;   Parent Loop BB9_9 Depth=1
                                        ; =>  This Inner Loop Header: Depth=2
	ds_read_b128 v[28:31], v26
	ds_read_b128 v[38:41], v27
	s_add_i32 s31, s31, -1
	v_add_u32_e32 v27, 16, v27
	v_add_u32_e32 v26, 16, v26
	s_cmp_lg_u32 s31, 0
	s_waitcnt lgkmcnt(0)
	v_fmac_f64_e32 v[20:21], v[28:29], v[38:39]
	v_fmac_f64_e32 v[12:13], v[30:31], v[38:39]
	v_fma_f64 v[20:21], -v[30:31], v[40:41], v[20:21]
	v_fmac_f64_e32 v[12:13], v[28:29], v[40:41]
	s_cbranch_scc1 .LBB9_29
.LBB9_30:                               ;   in Loop: Header=BB9_9 Depth=1
	s_or_b64 exec, exec, s[42:43]
	s_and_saveexec_b64 s[42:43], s[38:39]
	s_cbranch_execz .LBB9_7
; %bb.31:                               ;   in Loop: Header=BB9_9 Depth=1
	v_mov_b32_e32 v26, v33
	s_mov_b32 s31, s29
	v_mov_b32_e32 v27, v37
.LBB9_32:                               ;   Parent Loop BB9_9 Depth=1
                                        ; =>  This Inner Loop Header: Depth=2
	ds_read_b128 v[28:31], v26
	ds_read_b128 v[38:41], v27
	s_add_i32 s31, s31, -1
	v_add_u32_e32 v27, 16, v27
	v_add_u32_e32 v26, 16, v26
	s_cmp_lg_u32 s31, 0
	s_waitcnt lgkmcnt(0)
	v_fmac_f64_e32 v[0:1], v[28:29], v[38:39]
	v_fmac_f64_e32 v[18:19], v[30:31], v[38:39]
	v_fma_f64 v[0:1], -v[30:31], v[40:41], v[0:1]
	v_fmac_f64_e32 v[18:19], v[28:29], v[40:41]
	s_cbranch_scc1 .LBB9_32
	s_branch .LBB9_7
.LBB9_33:
	s_and_b64 s[8:9], s[18:19], s[8:9]
	s_and_b64 exec, exec, s[8:9]
	s_cbranch_execz .LBB9_44
; %bb.34:
	s_mul_i32 s2, s28, s2
	v_add_u32_e32 v10, s2, v10
	s_load_dwordx2 s[2:3], s[0:1], 0x68
	v_cmp_neq_f64_e32 vcc, 0, v[2:3]
	v_cmp_neq_f64_e64 s[0:1], 0, v[4:5]
	v_ashrrev_i32_e32 v11, 31, v10
	s_or_b64 s[0:1], vcc, s[0:1]
	v_lshl_add_u64 v[22:23], v[10:11], 4, s[26:27]
	s_and_saveexec_b64 s[8:9], s[6:7]
	s_cbranch_execz .LBB9_39
; %bb.35:
	v_ashrrev_i32_e32 v15, 31, v16
	v_mul_f64 v[10:11], v[12:13], -v[8:9]
	v_mul_f64 v[12:13], v[6:7], v[12:13]
	s_waitcnt lgkmcnt(0)
	v_mul_lo_u32 v17, s3, v16
	v_mul_lo_u32 v15, s2, v15
	v_fmac_f64_e32 v[10:11], v[6:7], v[20:21]
	v_fmac_f64_e32 v[12:13], v[8:9], v[20:21]
	s_and_saveexec_b64 s[6:7], s[0:1]
	s_xor_b64 s[6:7], exec, s[6:7]
	s_cbranch_execz .LBB9_37
; %bb.36:
	v_mad_u64_u32 v[20:21], s[10:11], s2, v16, 0
	v_add3_u32 v21, v21, v15, v17
	v_lshl_add_u64 v[16:17], v[20:21], 4, v[22:23]
	global_load_dwordx4 v[24:27], v[16:17], off
                                        ; implicit-def: $vgpr15
	s_waitcnt vmcnt(0)
	v_fmac_f64_e32 v[10:11], v[2:3], v[24:25]
	v_fmac_f64_e32 v[12:13], v[4:5], v[24:25]
	v_fma_f64 v[10:11], -v[4:5], v[26:27], v[10:11]
	v_fmac_f64_e32 v[12:13], v[2:3], v[26:27]
	global_store_dwordx4 v[16:17], v[10:13], off
                                        ; implicit-def: $vgpr16
                                        ; implicit-def: $vgpr17
                                        ; implicit-def: $vgpr10_vgpr11
.LBB9_37:
	s_andn2_saveexec_b64 s[6:7], s[6:7]
	s_cbranch_execz .LBB9_39
; %bb.38:
	v_mad_u64_u32 v[20:21], s[6:7], s2, v16, 0
	v_add3_u32 v21, v21, v15, v17
	v_lshl_add_u64 v[16:17], v[20:21], 4, v[22:23]
	global_store_dwordx4 v[16:17], v[10:13], off
.LBB9_39:
	s_or_b64 exec, exec, s[8:9]
	s_and_b64 exec, exec, s[4:5]
	s_cbranch_execz .LBB9_44
; %bb.40:
	v_ashrrev_i32_e32 v15, 31, v14
	v_mul_f64 v[10:11], v[18:19], -v[8:9]
	v_mul_f64 v[12:13], v[6:7], v[18:19]
	s_waitcnt lgkmcnt(0)
	v_mul_lo_u32 v16, s3, v14
	v_mul_lo_u32 v15, s2, v15
	v_fmac_f64_e32 v[10:11], v[6:7], v[0:1]
	v_fmac_f64_e32 v[12:13], v[8:9], v[0:1]
	s_and_saveexec_b64 s[4:5], s[0:1]
	s_xor_b64 s[0:1], exec, s[4:5]
	s_cbranch_execz .LBB9_42
; %bb.41:
	v_mad_u64_u32 v[0:1], s[4:5], s2, v14, 0
	v_add3_u32 v1, v1, v15, v16
	v_lshl_add_u64 v[0:1], v[0:1], 4, v[22:23]
	global_load_dwordx4 v[6:9], v[0:1], off
                                        ; implicit-def: $vgpr14
                                        ; implicit-def: $vgpr15
                                        ; implicit-def: $vgpr16
                                        ; implicit-def: $vgpr22_vgpr23
	s_waitcnt vmcnt(0)
	v_fmac_f64_e32 v[10:11], v[2:3], v[6:7]
	v_fmac_f64_e32 v[12:13], v[4:5], v[6:7]
	v_fma_f64 v[10:11], -v[4:5], v[8:9], v[10:11]
	v_fmac_f64_e32 v[12:13], v[2:3], v[8:9]
	global_store_dwordx4 v[0:1], v[10:13], off
                                        ; implicit-def: $vgpr10_vgpr11
.LBB9_42:
	s_andn2_saveexec_b64 s[0:1], s[0:1]
	s_cbranch_execz .LBB9_44
; %bb.43:
	v_mad_u64_u32 v[0:1], s[0:1], s2, v14, 0
	v_add3_u32 v1, v1, v15, v16
	v_lshl_add_u64 v[0:1], v[0:1], 4, v[22:23]
	global_store_dwordx4 v[0:1], v[10:13], off
.LBB9_44:
	s_endpgm
	.section	.rodata,"a",@progbits
	.p2align	6, 0x0
	.amdhsa_kernel _ZN9rocsparseL33gebsrmm_large_blockdim_kernel_extILi8ELi8ELi2E21rocsparse_complex_numIdEEEv20rocsparse_direction_20rocsparse_operation_iiNS_24const_host_device_scalarIT2_EEPKiS9_PKS6_iiSB_lS7_PS6_l21rocsparse_index_base_b
		.amdhsa_group_segment_fixed_size 3072
		.amdhsa_private_segment_fixed_size 0
		.amdhsa_kernarg_size 120
		.amdhsa_user_sgpr_count 2
		.amdhsa_user_sgpr_dispatch_ptr 0
		.amdhsa_user_sgpr_queue_ptr 0
		.amdhsa_user_sgpr_kernarg_segment_ptr 1
		.amdhsa_user_sgpr_dispatch_id 0
		.amdhsa_user_sgpr_kernarg_preload_length 0
		.amdhsa_user_sgpr_kernarg_preload_offset 0
		.amdhsa_user_sgpr_private_segment_size 0
		.amdhsa_uses_dynamic_stack 0
		.amdhsa_enable_private_segment 0
		.amdhsa_system_sgpr_workgroup_id_x 1
		.amdhsa_system_sgpr_workgroup_id_y 1
		.amdhsa_system_sgpr_workgroup_id_z 0
		.amdhsa_system_sgpr_workgroup_info 0
		.amdhsa_system_vgpr_workitem_id 1
		.amdhsa_next_free_vgpr 42
		.amdhsa_next_free_sgpr 48
		.amdhsa_accum_offset 44
		.amdhsa_reserve_vcc 1
		.amdhsa_float_round_mode_32 0
		.amdhsa_float_round_mode_16_64 0
		.amdhsa_float_denorm_mode_32 3
		.amdhsa_float_denorm_mode_16_64 3
		.amdhsa_dx10_clamp 1
		.amdhsa_ieee_mode 1
		.amdhsa_fp16_overflow 0
		.amdhsa_tg_split 0
		.amdhsa_exception_fp_ieee_invalid_op 0
		.amdhsa_exception_fp_denorm_src 0
		.amdhsa_exception_fp_ieee_div_zero 0
		.amdhsa_exception_fp_ieee_overflow 0
		.amdhsa_exception_fp_ieee_underflow 0
		.amdhsa_exception_fp_ieee_inexact 0
		.amdhsa_exception_int_div_zero 0
	.end_amdhsa_kernel
	.section	.text._ZN9rocsparseL33gebsrmm_large_blockdim_kernel_extILi8ELi8ELi2E21rocsparse_complex_numIdEEEv20rocsparse_direction_20rocsparse_operation_iiNS_24const_host_device_scalarIT2_EEPKiS9_PKS6_iiSB_lS7_PS6_l21rocsparse_index_base_b,"axG",@progbits,_ZN9rocsparseL33gebsrmm_large_blockdim_kernel_extILi8ELi8ELi2E21rocsparse_complex_numIdEEEv20rocsparse_direction_20rocsparse_operation_iiNS_24const_host_device_scalarIT2_EEPKiS9_PKS6_iiSB_lS7_PS6_l21rocsparse_index_base_b,comdat
.Lfunc_end9:
	.size	_ZN9rocsparseL33gebsrmm_large_blockdim_kernel_extILi8ELi8ELi2E21rocsparse_complex_numIdEEEv20rocsparse_direction_20rocsparse_operation_iiNS_24const_host_device_scalarIT2_EEPKiS9_PKS6_iiSB_lS7_PS6_l21rocsparse_index_base_b, .Lfunc_end9-_ZN9rocsparseL33gebsrmm_large_blockdim_kernel_extILi8ELi8ELi2E21rocsparse_complex_numIdEEEv20rocsparse_direction_20rocsparse_operation_iiNS_24const_host_device_scalarIT2_EEPKiS9_PKS6_iiSB_lS7_PS6_l21rocsparse_index_base_b
                                        ; -- End function
	.set _ZN9rocsparseL33gebsrmm_large_blockdim_kernel_extILi8ELi8ELi2E21rocsparse_complex_numIdEEEv20rocsparse_direction_20rocsparse_operation_iiNS_24const_host_device_scalarIT2_EEPKiS9_PKS6_iiSB_lS7_PS6_l21rocsparse_index_base_b.num_vgpr, 42
	.set _ZN9rocsparseL33gebsrmm_large_blockdim_kernel_extILi8ELi8ELi2E21rocsparse_complex_numIdEEEv20rocsparse_direction_20rocsparse_operation_iiNS_24const_host_device_scalarIT2_EEPKiS9_PKS6_iiSB_lS7_PS6_l21rocsparse_index_base_b.num_agpr, 0
	.set _ZN9rocsparseL33gebsrmm_large_blockdim_kernel_extILi8ELi8ELi2E21rocsparse_complex_numIdEEEv20rocsparse_direction_20rocsparse_operation_iiNS_24const_host_device_scalarIT2_EEPKiS9_PKS6_iiSB_lS7_PS6_l21rocsparse_index_base_b.numbered_sgpr, 48
	.set _ZN9rocsparseL33gebsrmm_large_blockdim_kernel_extILi8ELi8ELi2E21rocsparse_complex_numIdEEEv20rocsparse_direction_20rocsparse_operation_iiNS_24const_host_device_scalarIT2_EEPKiS9_PKS6_iiSB_lS7_PS6_l21rocsparse_index_base_b.num_named_barrier, 0
	.set _ZN9rocsparseL33gebsrmm_large_blockdim_kernel_extILi8ELi8ELi2E21rocsparse_complex_numIdEEEv20rocsparse_direction_20rocsparse_operation_iiNS_24const_host_device_scalarIT2_EEPKiS9_PKS6_iiSB_lS7_PS6_l21rocsparse_index_base_b.private_seg_size, 0
	.set _ZN9rocsparseL33gebsrmm_large_blockdim_kernel_extILi8ELi8ELi2E21rocsparse_complex_numIdEEEv20rocsparse_direction_20rocsparse_operation_iiNS_24const_host_device_scalarIT2_EEPKiS9_PKS6_iiSB_lS7_PS6_l21rocsparse_index_base_b.uses_vcc, 1
	.set _ZN9rocsparseL33gebsrmm_large_blockdim_kernel_extILi8ELi8ELi2E21rocsparse_complex_numIdEEEv20rocsparse_direction_20rocsparse_operation_iiNS_24const_host_device_scalarIT2_EEPKiS9_PKS6_iiSB_lS7_PS6_l21rocsparse_index_base_b.uses_flat_scratch, 0
	.set _ZN9rocsparseL33gebsrmm_large_blockdim_kernel_extILi8ELi8ELi2E21rocsparse_complex_numIdEEEv20rocsparse_direction_20rocsparse_operation_iiNS_24const_host_device_scalarIT2_EEPKiS9_PKS6_iiSB_lS7_PS6_l21rocsparse_index_base_b.has_dyn_sized_stack, 0
	.set _ZN9rocsparseL33gebsrmm_large_blockdim_kernel_extILi8ELi8ELi2E21rocsparse_complex_numIdEEEv20rocsparse_direction_20rocsparse_operation_iiNS_24const_host_device_scalarIT2_EEPKiS9_PKS6_iiSB_lS7_PS6_l21rocsparse_index_base_b.has_recursion, 0
	.set _ZN9rocsparseL33gebsrmm_large_blockdim_kernel_extILi8ELi8ELi2E21rocsparse_complex_numIdEEEv20rocsparse_direction_20rocsparse_operation_iiNS_24const_host_device_scalarIT2_EEPKiS9_PKS6_iiSB_lS7_PS6_l21rocsparse_index_base_b.has_indirect_call, 0
	.section	.AMDGPU.csdata,"",@progbits
; Kernel info:
; codeLenInByte = 1556
; TotalNumSgprs: 54
; NumVgprs: 42
; NumAgprs: 0
; TotalNumVgprs: 42
; ScratchSize: 0
; MemoryBound: 0
; FloatMode: 240
; IeeeMode: 1
; LDSByteSize: 3072 bytes/workgroup (compile time only)
; SGPRBlocks: 6
; VGPRBlocks: 5
; NumSGPRsForWavesPerEU: 54
; NumVGPRsForWavesPerEU: 42
; AccumOffset: 44
; Occupancy: 8
; WaveLimiterHint : 0
; COMPUTE_PGM_RSRC2:SCRATCH_EN: 0
; COMPUTE_PGM_RSRC2:USER_SGPR: 2
; COMPUTE_PGM_RSRC2:TRAP_HANDLER: 0
; COMPUTE_PGM_RSRC2:TGID_X_EN: 1
; COMPUTE_PGM_RSRC2:TGID_Y_EN: 1
; COMPUTE_PGM_RSRC2:TGID_Z_EN: 0
; COMPUTE_PGM_RSRC2:TIDIG_COMP_CNT: 1
; COMPUTE_PGM_RSRC3_GFX90A:ACCUM_OFFSET: 10
; COMPUTE_PGM_RSRC3_GFX90A:TG_SPLIT: 0
	.section	.text._ZN9rocsparseL33gebsrmm_large_blockdim_kernel_extILi16ELi16ELi2E21rocsparse_complex_numIdEEEv20rocsparse_direction_20rocsparse_operation_iiNS_24const_host_device_scalarIT2_EEPKiS9_PKS6_iiSB_lS7_PS6_l21rocsparse_index_base_b,"axG",@progbits,_ZN9rocsparseL33gebsrmm_large_blockdim_kernel_extILi16ELi16ELi2E21rocsparse_complex_numIdEEEv20rocsparse_direction_20rocsparse_operation_iiNS_24const_host_device_scalarIT2_EEPKiS9_PKS6_iiSB_lS7_PS6_l21rocsparse_index_base_b,comdat
	.globl	_ZN9rocsparseL33gebsrmm_large_blockdim_kernel_extILi16ELi16ELi2E21rocsparse_complex_numIdEEEv20rocsparse_direction_20rocsparse_operation_iiNS_24const_host_device_scalarIT2_EEPKiS9_PKS6_iiSB_lS7_PS6_l21rocsparse_index_base_b ; -- Begin function _ZN9rocsparseL33gebsrmm_large_blockdim_kernel_extILi16ELi16ELi2E21rocsparse_complex_numIdEEEv20rocsparse_direction_20rocsparse_operation_iiNS_24const_host_device_scalarIT2_EEPKiS9_PKS6_iiSB_lS7_PS6_l21rocsparse_index_base_b
	.p2align	8
	.type	_ZN9rocsparseL33gebsrmm_large_blockdim_kernel_extILi16ELi16ELi2E21rocsparse_complex_numIdEEEv20rocsparse_direction_20rocsparse_operation_iiNS_24const_host_device_scalarIT2_EEPKiS9_PKS6_iiSB_lS7_PS6_l21rocsparse_index_base_b,@function
_ZN9rocsparseL33gebsrmm_large_blockdim_kernel_extILi16ELi16ELi2E21rocsparse_complex_numIdEEEv20rocsparse_direction_20rocsparse_operation_iiNS_24const_host_device_scalarIT2_EEPKiS9_PKS6_iiSB_lS7_PS6_l21rocsparse_index_base_b: ; @_ZN9rocsparseL33gebsrmm_large_blockdim_kernel_extILi16ELi16ELi2E21rocsparse_complex_numIdEEEv20rocsparse_direction_20rocsparse_operation_iiNS_24const_host_device_scalarIT2_EEPKiS9_PKS6_iiSB_lS7_PS6_l21rocsparse_index_base_b
; %bb.0:
	s_load_dwordx2 s[4:5], s[0:1], 0x10
	s_load_dwordx4 s[16:19], s[0:1], 0x48
	s_load_dwordx2 s[24:25], s[0:1], 0x70
	s_add_u32 s6, s0, 16
	s_addc_u32 s7, s1, 0
	s_add_u32 s8, s0, 0x50
	s_addc_u32 s9, s1, 0
	s_waitcnt lgkmcnt(0)
	s_bitcmp1_b32 s25, 0
	s_cselect_b32 s5, s7, s5
	s_cselect_b32 s4, s6, s4
	v_mov_b32_e32 v2, s4
	v_mov_b32_e32 v3, s5
	flat_load_dwordx4 v[6:9], v[2:3]
	s_cselect_b32 s4, s9, s19
	s_cselect_b32 s5, s8, s18
	v_mov_b32_e32 v2, s5
	v_mov_b32_e32 v3, s4
	flat_load_dwordx4 v[2:5], v[2:3]
	s_waitcnt vmcnt(0) lgkmcnt(0)
	v_cmp_eq_f64_e32 vcc, 0, v[6:7]
	v_cmp_eq_f64_e64 s[4:5], 0, v[8:9]
	s_and_b64 s[8:9], vcc, s[4:5]
	s_mov_b64 s[4:5], -1
	s_and_saveexec_b64 s[6:7], s[8:9]
; %bb.1:
	v_cmp_neq_f64_e32 vcc, 1.0, v[2:3]
	v_cmp_neq_f64_e64 s[4:5], 0, v[4:5]
	s_or_b64 s[4:5], vcc, s[4:5]
	s_orn2_b64 s[4:5], s[4:5], exec
; %bb.2:
	s_or_b64 exec, exec, s[6:7]
	s_and_saveexec_b64 s[6:7], s[4:5]
	s_cbranch_execz .LBB10_44
; %bb.3:
	s_load_dwordx4 s[12:15], s[0:1], 0x0
	s_mov_b32 s30, 0
	s_mov_b32 s25, 0
	s_waitcnt lgkmcnt(0)
	s_cmp_lt_i32 s2, s14
	s_cselect_b64 s[18:19], -1, 0
	s_cmp_ge_i32 s2, s14
	s_cbranch_scc1 .LBB10_5
; %bb.4:
	s_load_dwordx2 s[6:7], s[0:1], 0x20
	s_mov_b32 s4, s3
	s_ashr_i32 s3, s2, 31
	s_lshl_b64 s[8:9], s[2:3], 2
	s_mov_b32 s3, s4
	s_waitcnt lgkmcnt(0)
	s_add_u32 s4, s6, s8
	s_addc_u32 s5, s7, s9
	s_load_dwordx2 s[6:7], s[4:5], 0x0
	s_waitcnt lgkmcnt(0)
	s_sub_i32 s30, s6, s24
	s_sub_i32 s25, s7, s24
.LBB10_5:
	s_load_dwordx2 s[26:27], s[0:1], 0x60
	s_load_dwordx2 s[28:29], s[0:1], 0x38
	v_bfe_u32 v22, v0, 10, 10
	v_lshl_add_u32 v16, s3, 5, v22
	v_add_u32_e32 v14, 16, v16
	v_and_b32_e32 v10, 0x3ff, v0
	v_cmp_gt_i32_e64 s[6:7], s15, v16
	v_cmp_gt_i32_e64 s[4:5], s15, v14
	s_waitcnt lgkmcnt(0)
	v_cmp_gt_i32_e64 s[8:9], s28, v10
	v_mov_b64_e32 v[18:19], 0
	s_cmp_ge_i32 s30, s25
	v_mov_b64_e32 v[0:1], 0
	v_mov_b64_e32 v[12:13], 0
	;; [unrolled: 1-line block ×3, first 2 shown]
	s_cbranch_scc1 .LBB10_33
; %bb.6:
	v_cmp_gt_i32_e32 vcc, s29, v22
	s_and_b64 s[34:35], s[8:9], vcc
	s_cmpk_lg_i32 s13, 0x6f
	v_lshlrev_b32_e32 v11, 8, v22
	s_cselect_b64 s[40:41], -1, 0
	s_cmp_eq_u32 s12, 0
	v_mad_u64_u32 v[0:1], s[12:13], s28, v22, v[10:11]
	s_load_dwordx4 s[20:23], s[0:1], 0x28
	s_load_dwordx2 s[14:15], s[0:1], 0x40
	v_mov_b32_e32 v1, 0x2000
	v_mad_u64_u32 v[12:13], s[12:13], s29, v10, v[22:23]
	v_lshl_add_u32 v33, v10, 8, v1
	v_ashrrev_i32_e32 v17, 31, v16
	s_cselect_b64 vcc, -1, 0
	v_lshl_add_u32 v34, v22, 4, v33
	s_cmp_gt_i32 s29, 0
	v_ashrrev_i32_e32 v15, 31, v14
	v_mul_lo_u32 v1, s17, v16
	v_mul_lo_u32 v13, s16, v17
	v_mad_u64_u32 v[22:23], s[36:37], s16, v16, 0
	v_lshl_add_u32 v32, v10, 4, v11
	s_cselect_b64 s[12:13], -1, 0
	v_add3_u32 v23, v23, v13, v1
	v_mul_lo_u32 v1, s17, v14
	v_mul_lo_u32 v13, s16, v15
	v_mad_u64_u32 v[24:25], s[36:37], s16, v14, 0
	v_cndmask_b32_e32 v36, v0, v12, vcc
	v_cndmask_b32_e64 v0, 0, 1, s[40:41]
	s_mul_i32 s3, s29, s28
	v_cmp_gt_i32_e64 s[10:11], s29, v10
	v_add_u32_e32 v35, 0x1000, v32
	v_add3_u32 v25, v25, v13, v1
	s_and_b64 s[36:37], s[6:7], s[12:13]
	s_and_b64 s[38:39], s[4:5], s[12:13]
	v_add_u32_e32 v37, 0x1000, v11
	v_mov_b64_e32 v[20:21], 0
	v_cmp_ne_u32_e64 s[12:13], 1, v0
	v_mov_b64_e32 v[12:13], 0
	v_mov_b64_e32 v[0:1], 0
	;; [unrolled: 1-line block ×3, first 2 shown]
	s_branch .LBB10_9
.LBB10_7:                               ;   in Loop: Header=BB10_9 Depth=1
	s_or_b64 exec, exec, s[42:43]
.LBB10_8:                               ;   in Loop: Header=BB10_9 Depth=1
	s_or_b64 exec, exec, s[40:41]
	s_add_i32 s30, s30, 1
	s_cmp_ge_i32 s30, s25
	s_barrier
	s_cbranch_scc1 .LBB10_33
.LBB10_9:                               ; =>This Loop Header: Depth=1
                                        ;     Child Loop BB10_29 Depth 2
                                        ;     Child Loop BB10_32 Depth 2
	s_and_saveexec_b64 s[40:41], s[10:11]
	s_cbranch_execz .LBB10_24
; %bb.10:                               ;   in Loop: Header=BB10_9 Depth=1
	s_ashr_i32 s31, s30, 31
	s_lshl_b64 s[42:43], s[30:31], 2
	s_waitcnt lgkmcnt(0)
	s_add_u32 s42, s20, s42
	s_addc_u32 s43, s21, s43
	s_load_dword s31, s[42:43], 0x0
	s_and_b64 vcc, exec, s[12:13]
	s_waitcnt lgkmcnt(0)
	s_sub_i32 s31, s31, s24
	s_mul_i32 s31, s31, s29
	v_add_u32_e32 v26, s31, v10
	v_ashrrev_i32_e32 v27, 31, v26
	s_cbranch_vccnz .LBB10_16
; %bb.11:                               ;   in Loop: Header=BB10_9 Depth=1
	v_mul_lo_u32 v30, s17, v26
	v_mul_lo_u32 v31, s16, v27
	v_mad_u64_u32 v[28:29], s[42:43], s16, v26, 0
	v_add3_u32 v29, v29, v31, v30
	v_lshl_add_u64 v[30:31], v[28:29], 4, s[14:15]
	s_and_saveexec_b64 s[42:43], s[6:7]
	s_cbranch_execz .LBB10_13
; %bb.12:                               ;   in Loop: Header=BB10_9 Depth=1
	v_lshl_add_u64 v[28:29], v[16:17], 4, v[30:31]
	global_load_dwordx4 v[38:41], v[28:29], off
	s_waitcnt vmcnt(0)
	ds_write2_b64 v32, v[38:39], v[40:41] offset1:1
.LBB10_13:                              ;   in Loop: Header=BB10_9 Depth=1
	s_or_b64 exec, exec, s[42:43]
	s_mov_b64 s[44:45], 0
	s_mov_b64 s[42:43], 0
                                        ; implicit-def: $vgpr28_vgpr29
	s_and_saveexec_b64 s[46:47], s[4:5]
	s_xor_b64 s[46:47], exec, s[46:47]
; %bb.14:                               ;   in Loop: Header=BB10_9 Depth=1
	s_mov_b64 s[42:43], exec
	v_lshl_add_u64 v[28:29], v[14:15], 4, v[30:31]
; %bb.15:                               ;   in Loop: Header=BB10_9 Depth=1
	s_or_b64 exec, exec, s[46:47]
	s_and_b64 vcc, exec, s[44:45]
	s_cbranch_vccnz .LBB10_17
	s_branch .LBB10_22
.LBB10_16:                              ;   in Loop: Header=BB10_9 Depth=1
	s_mov_b64 s[42:43], 0
                                        ; implicit-def: $vgpr28_vgpr29
	s_cbranch_execz .LBB10_22
.LBB10_17:                              ;   in Loop: Header=BB10_9 Depth=1
	v_lshl_add_u64 v[26:27], v[26:27], 4, s[14:15]
	s_and_saveexec_b64 s[44:45], s[6:7]
	s_cbranch_execz .LBB10_19
; %bb.18:                               ;   in Loop: Header=BB10_9 Depth=1
	v_lshl_add_u64 v[28:29], v[22:23], 4, v[26:27]
	global_load_dwordx4 v[28:31], v[28:29], off
	s_waitcnt vmcnt(0)
	ds_write2_b64 v32, v[28:29], v[30:31] offset1:1
.LBB10_19:                              ;   in Loop: Header=BB10_9 Depth=1
	s_or_b64 exec, exec, s[44:45]
                                        ; implicit-def: $vgpr28_vgpr29
	s_and_saveexec_b64 s[44:45], s[4:5]
; %bb.20:                               ;   in Loop: Header=BB10_9 Depth=1
	v_lshl_add_u64 v[28:29], v[24:25], 4, v[26:27]
	s_or_b64 s[42:43], s[42:43], exec
; %bb.21:                               ;   in Loop: Header=BB10_9 Depth=1
	s_or_b64 exec, exec, s[44:45]
.LBB10_22:                              ;   in Loop: Header=BB10_9 Depth=1
	s_and_b64 exec, exec, s[42:43]
	s_cbranch_execz .LBB10_24
; %bb.23:                               ;   in Loop: Header=BB10_9 Depth=1
	global_load_dwordx4 v[26:29], v[28:29], off
	s_waitcnt vmcnt(0)
	ds_write2_b64 v35, v[26:27], v[28:29] offset1:1
.LBB10_24:                              ;   in Loop: Header=BB10_9 Depth=1
	s_or_b64 exec, exec, s[40:41]
	s_and_saveexec_b64 s[40:41], s[34:35]
	s_cbranch_execz .LBB10_26
; %bb.25:                               ;   in Loop: Header=BB10_9 Depth=1
	s_mul_i32 s31, s3, s30
	v_add_u32_e32 v26, s31, v36
	v_ashrrev_i32_e32 v27, 31, v26
	s_waitcnt lgkmcnt(0)
	v_lshl_add_u64 v[26:27], v[26:27], 4, s[22:23]
	global_load_dwordx4 v[26:29], v[26:27], off
	s_waitcnt vmcnt(0)
	ds_write2_b64 v34, v[26:27], v[28:29] offset1:1
.LBB10_26:                              ;   in Loop: Header=BB10_9 Depth=1
	s_or_b64 exec, exec, s[40:41]
	s_waitcnt lgkmcnt(0)
	s_barrier
	s_and_saveexec_b64 s[40:41], s[8:9]
	s_cbranch_execz .LBB10_8
; %bb.27:                               ;   in Loop: Header=BB10_9 Depth=1
	s_and_saveexec_b64 s[42:43], s[36:37]
	s_cbranch_execz .LBB10_30
; %bb.28:                               ;   in Loop: Header=BB10_9 Depth=1
	v_mov_b32_e32 v26, v33
	v_mov_b32_e32 v27, v11
	s_mov_b32 s31, s29
.LBB10_29:                              ;   Parent Loop BB10_9 Depth=1
                                        ; =>  This Inner Loop Header: Depth=2
	ds_read_b128 v[28:31], v26
	ds_read_b128 v[38:41], v27
	s_add_i32 s31, s31, -1
	v_add_u32_e32 v27, 16, v27
	v_add_u32_e32 v26, 16, v26
	s_cmp_lg_u32 s31, 0
	s_waitcnt lgkmcnt(0)
	v_fmac_f64_e32 v[20:21], v[28:29], v[38:39]
	v_fmac_f64_e32 v[12:13], v[30:31], v[38:39]
	v_fma_f64 v[20:21], -v[30:31], v[40:41], v[20:21]
	v_fmac_f64_e32 v[12:13], v[28:29], v[40:41]
	s_cbranch_scc1 .LBB10_29
.LBB10_30:                              ;   in Loop: Header=BB10_9 Depth=1
	s_or_b64 exec, exec, s[42:43]
	s_and_saveexec_b64 s[42:43], s[38:39]
	s_cbranch_execz .LBB10_7
; %bb.31:                               ;   in Loop: Header=BB10_9 Depth=1
	v_mov_b32_e32 v26, v33
	s_mov_b32 s31, s29
	v_mov_b32_e32 v27, v37
.LBB10_32:                              ;   Parent Loop BB10_9 Depth=1
                                        ; =>  This Inner Loop Header: Depth=2
	ds_read_b128 v[28:31], v26
	ds_read_b128 v[38:41], v27
	s_add_i32 s31, s31, -1
	v_add_u32_e32 v27, 16, v27
	v_add_u32_e32 v26, 16, v26
	s_cmp_lg_u32 s31, 0
	s_waitcnt lgkmcnt(0)
	v_fmac_f64_e32 v[0:1], v[28:29], v[38:39]
	v_fmac_f64_e32 v[18:19], v[30:31], v[38:39]
	v_fma_f64 v[0:1], -v[30:31], v[40:41], v[0:1]
	v_fmac_f64_e32 v[18:19], v[28:29], v[40:41]
	s_cbranch_scc1 .LBB10_32
	s_branch .LBB10_7
.LBB10_33:
	s_and_b64 s[8:9], s[18:19], s[8:9]
	s_and_b64 exec, exec, s[8:9]
	s_cbranch_execz .LBB10_44
; %bb.34:
	s_mul_i32 s2, s28, s2
	v_add_u32_e32 v10, s2, v10
	s_load_dwordx2 s[2:3], s[0:1], 0x68
	v_cmp_neq_f64_e32 vcc, 0, v[2:3]
	v_cmp_neq_f64_e64 s[0:1], 0, v[4:5]
	v_ashrrev_i32_e32 v11, 31, v10
	s_or_b64 s[0:1], vcc, s[0:1]
	v_lshl_add_u64 v[22:23], v[10:11], 4, s[26:27]
	s_and_saveexec_b64 s[8:9], s[6:7]
	s_cbranch_execz .LBB10_39
; %bb.35:
	v_ashrrev_i32_e32 v15, 31, v16
	v_mul_f64 v[10:11], v[12:13], -v[8:9]
	v_mul_f64 v[12:13], v[6:7], v[12:13]
	s_waitcnt lgkmcnt(0)
	v_mul_lo_u32 v17, s3, v16
	v_mul_lo_u32 v15, s2, v15
	v_fmac_f64_e32 v[10:11], v[6:7], v[20:21]
	v_fmac_f64_e32 v[12:13], v[8:9], v[20:21]
	s_and_saveexec_b64 s[6:7], s[0:1]
	s_xor_b64 s[6:7], exec, s[6:7]
	s_cbranch_execz .LBB10_37
; %bb.36:
	v_mad_u64_u32 v[20:21], s[10:11], s2, v16, 0
	v_add3_u32 v21, v21, v15, v17
	v_lshl_add_u64 v[16:17], v[20:21], 4, v[22:23]
	global_load_dwordx4 v[24:27], v[16:17], off
                                        ; implicit-def: $vgpr15
	s_waitcnt vmcnt(0)
	v_fmac_f64_e32 v[10:11], v[2:3], v[24:25]
	v_fmac_f64_e32 v[12:13], v[4:5], v[24:25]
	v_fma_f64 v[10:11], -v[4:5], v[26:27], v[10:11]
	v_fmac_f64_e32 v[12:13], v[2:3], v[26:27]
	global_store_dwordx4 v[16:17], v[10:13], off
                                        ; implicit-def: $vgpr16
                                        ; implicit-def: $vgpr17
                                        ; implicit-def: $vgpr10_vgpr11
.LBB10_37:
	s_andn2_saveexec_b64 s[6:7], s[6:7]
	s_cbranch_execz .LBB10_39
; %bb.38:
	v_mad_u64_u32 v[20:21], s[6:7], s2, v16, 0
	v_add3_u32 v21, v21, v15, v17
	v_lshl_add_u64 v[16:17], v[20:21], 4, v[22:23]
	global_store_dwordx4 v[16:17], v[10:13], off
.LBB10_39:
	s_or_b64 exec, exec, s[8:9]
	s_and_b64 exec, exec, s[4:5]
	s_cbranch_execz .LBB10_44
; %bb.40:
	v_ashrrev_i32_e32 v15, 31, v14
	v_mul_f64 v[10:11], v[18:19], -v[8:9]
	v_mul_f64 v[12:13], v[6:7], v[18:19]
	s_waitcnt lgkmcnt(0)
	v_mul_lo_u32 v16, s3, v14
	v_mul_lo_u32 v15, s2, v15
	v_fmac_f64_e32 v[10:11], v[6:7], v[0:1]
	v_fmac_f64_e32 v[12:13], v[8:9], v[0:1]
	s_and_saveexec_b64 s[4:5], s[0:1]
	s_xor_b64 s[0:1], exec, s[4:5]
	s_cbranch_execz .LBB10_42
; %bb.41:
	v_mad_u64_u32 v[0:1], s[4:5], s2, v14, 0
	v_add3_u32 v1, v1, v15, v16
	v_lshl_add_u64 v[0:1], v[0:1], 4, v[22:23]
	global_load_dwordx4 v[6:9], v[0:1], off
                                        ; implicit-def: $vgpr14
                                        ; implicit-def: $vgpr15
                                        ; implicit-def: $vgpr16
                                        ; implicit-def: $vgpr22_vgpr23
	s_waitcnt vmcnt(0)
	v_fmac_f64_e32 v[10:11], v[2:3], v[6:7]
	v_fmac_f64_e32 v[12:13], v[4:5], v[6:7]
	v_fma_f64 v[10:11], -v[4:5], v[8:9], v[10:11]
	v_fmac_f64_e32 v[12:13], v[2:3], v[8:9]
	global_store_dwordx4 v[0:1], v[10:13], off
                                        ; implicit-def: $vgpr10_vgpr11
.LBB10_42:
	s_andn2_saveexec_b64 s[0:1], s[0:1]
	s_cbranch_execz .LBB10_44
; %bb.43:
	v_mad_u64_u32 v[0:1], s[0:1], s2, v14, 0
	v_add3_u32 v1, v1, v15, v16
	v_lshl_add_u64 v[0:1], v[0:1], 4, v[22:23]
	global_store_dwordx4 v[0:1], v[10:13], off
.LBB10_44:
	s_endpgm
	.section	.rodata,"a",@progbits
	.p2align	6, 0x0
	.amdhsa_kernel _ZN9rocsparseL33gebsrmm_large_blockdim_kernel_extILi16ELi16ELi2E21rocsparse_complex_numIdEEEv20rocsparse_direction_20rocsparse_operation_iiNS_24const_host_device_scalarIT2_EEPKiS9_PKS6_iiSB_lS7_PS6_l21rocsparse_index_base_b
		.amdhsa_group_segment_fixed_size 12288
		.amdhsa_private_segment_fixed_size 0
		.amdhsa_kernarg_size 120
		.amdhsa_user_sgpr_count 2
		.amdhsa_user_sgpr_dispatch_ptr 0
		.amdhsa_user_sgpr_queue_ptr 0
		.amdhsa_user_sgpr_kernarg_segment_ptr 1
		.amdhsa_user_sgpr_dispatch_id 0
		.amdhsa_user_sgpr_kernarg_preload_length 0
		.amdhsa_user_sgpr_kernarg_preload_offset 0
		.amdhsa_user_sgpr_private_segment_size 0
		.amdhsa_uses_dynamic_stack 0
		.amdhsa_enable_private_segment 0
		.amdhsa_system_sgpr_workgroup_id_x 1
		.amdhsa_system_sgpr_workgroup_id_y 1
		.amdhsa_system_sgpr_workgroup_id_z 0
		.amdhsa_system_sgpr_workgroup_info 0
		.amdhsa_system_vgpr_workitem_id 1
		.amdhsa_next_free_vgpr 42
		.amdhsa_next_free_sgpr 48
		.amdhsa_accum_offset 44
		.amdhsa_reserve_vcc 1
		.amdhsa_float_round_mode_32 0
		.amdhsa_float_round_mode_16_64 0
		.amdhsa_float_denorm_mode_32 3
		.amdhsa_float_denorm_mode_16_64 3
		.amdhsa_dx10_clamp 1
		.amdhsa_ieee_mode 1
		.amdhsa_fp16_overflow 0
		.amdhsa_tg_split 0
		.amdhsa_exception_fp_ieee_invalid_op 0
		.amdhsa_exception_fp_denorm_src 0
		.amdhsa_exception_fp_ieee_div_zero 0
		.amdhsa_exception_fp_ieee_overflow 0
		.amdhsa_exception_fp_ieee_underflow 0
		.amdhsa_exception_fp_ieee_inexact 0
		.amdhsa_exception_int_div_zero 0
	.end_amdhsa_kernel
	.section	.text._ZN9rocsparseL33gebsrmm_large_blockdim_kernel_extILi16ELi16ELi2E21rocsparse_complex_numIdEEEv20rocsparse_direction_20rocsparse_operation_iiNS_24const_host_device_scalarIT2_EEPKiS9_PKS6_iiSB_lS7_PS6_l21rocsparse_index_base_b,"axG",@progbits,_ZN9rocsparseL33gebsrmm_large_blockdim_kernel_extILi16ELi16ELi2E21rocsparse_complex_numIdEEEv20rocsparse_direction_20rocsparse_operation_iiNS_24const_host_device_scalarIT2_EEPKiS9_PKS6_iiSB_lS7_PS6_l21rocsparse_index_base_b,comdat
.Lfunc_end10:
	.size	_ZN9rocsparseL33gebsrmm_large_blockdim_kernel_extILi16ELi16ELi2E21rocsparse_complex_numIdEEEv20rocsparse_direction_20rocsparse_operation_iiNS_24const_host_device_scalarIT2_EEPKiS9_PKS6_iiSB_lS7_PS6_l21rocsparse_index_base_b, .Lfunc_end10-_ZN9rocsparseL33gebsrmm_large_blockdim_kernel_extILi16ELi16ELi2E21rocsparse_complex_numIdEEEv20rocsparse_direction_20rocsparse_operation_iiNS_24const_host_device_scalarIT2_EEPKiS9_PKS6_iiSB_lS7_PS6_l21rocsparse_index_base_b
                                        ; -- End function
	.set _ZN9rocsparseL33gebsrmm_large_blockdim_kernel_extILi16ELi16ELi2E21rocsparse_complex_numIdEEEv20rocsparse_direction_20rocsparse_operation_iiNS_24const_host_device_scalarIT2_EEPKiS9_PKS6_iiSB_lS7_PS6_l21rocsparse_index_base_b.num_vgpr, 42
	.set _ZN9rocsparseL33gebsrmm_large_blockdim_kernel_extILi16ELi16ELi2E21rocsparse_complex_numIdEEEv20rocsparse_direction_20rocsparse_operation_iiNS_24const_host_device_scalarIT2_EEPKiS9_PKS6_iiSB_lS7_PS6_l21rocsparse_index_base_b.num_agpr, 0
	.set _ZN9rocsparseL33gebsrmm_large_blockdim_kernel_extILi16ELi16ELi2E21rocsparse_complex_numIdEEEv20rocsparse_direction_20rocsparse_operation_iiNS_24const_host_device_scalarIT2_EEPKiS9_PKS6_iiSB_lS7_PS6_l21rocsparse_index_base_b.numbered_sgpr, 48
	.set _ZN9rocsparseL33gebsrmm_large_blockdim_kernel_extILi16ELi16ELi2E21rocsparse_complex_numIdEEEv20rocsparse_direction_20rocsparse_operation_iiNS_24const_host_device_scalarIT2_EEPKiS9_PKS6_iiSB_lS7_PS6_l21rocsparse_index_base_b.num_named_barrier, 0
	.set _ZN9rocsparseL33gebsrmm_large_blockdim_kernel_extILi16ELi16ELi2E21rocsparse_complex_numIdEEEv20rocsparse_direction_20rocsparse_operation_iiNS_24const_host_device_scalarIT2_EEPKiS9_PKS6_iiSB_lS7_PS6_l21rocsparse_index_base_b.private_seg_size, 0
	.set _ZN9rocsparseL33gebsrmm_large_blockdim_kernel_extILi16ELi16ELi2E21rocsparse_complex_numIdEEEv20rocsparse_direction_20rocsparse_operation_iiNS_24const_host_device_scalarIT2_EEPKiS9_PKS6_iiSB_lS7_PS6_l21rocsparse_index_base_b.uses_vcc, 1
	.set _ZN9rocsparseL33gebsrmm_large_blockdim_kernel_extILi16ELi16ELi2E21rocsparse_complex_numIdEEEv20rocsparse_direction_20rocsparse_operation_iiNS_24const_host_device_scalarIT2_EEPKiS9_PKS6_iiSB_lS7_PS6_l21rocsparse_index_base_b.uses_flat_scratch, 0
	.set _ZN9rocsparseL33gebsrmm_large_blockdim_kernel_extILi16ELi16ELi2E21rocsparse_complex_numIdEEEv20rocsparse_direction_20rocsparse_operation_iiNS_24const_host_device_scalarIT2_EEPKiS9_PKS6_iiSB_lS7_PS6_l21rocsparse_index_base_b.has_dyn_sized_stack, 0
	.set _ZN9rocsparseL33gebsrmm_large_blockdim_kernel_extILi16ELi16ELi2E21rocsparse_complex_numIdEEEv20rocsparse_direction_20rocsparse_operation_iiNS_24const_host_device_scalarIT2_EEPKiS9_PKS6_iiSB_lS7_PS6_l21rocsparse_index_base_b.has_recursion, 0
	.set _ZN9rocsparseL33gebsrmm_large_blockdim_kernel_extILi16ELi16ELi2E21rocsparse_complex_numIdEEEv20rocsparse_direction_20rocsparse_operation_iiNS_24const_host_device_scalarIT2_EEPKiS9_PKS6_iiSB_lS7_PS6_l21rocsparse_index_base_b.has_indirect_call, 0
	.section	.AMDGPU.csdata,"",@progbits
; Kernel info:
; codeLenInByte = 1564
; TotalNumSgprs: 54
; NumVgprs: 42
; NumAgprs: 0
; TotalNumVgprs: 42
; ScratchSize: 0
; MemoryBound: 0
; FloatMode: 240
; IeeeMode: 1
; LDSByteSize: 12288 bytes/workgroup (compile time only)
; SGPRBlocks: 6
; VGPRBlocks: 5
; NumSGPRsForWavesPerEU: 54
; NumVGPRsForWavesPerEU: 42
; AccumOffset: 44
; Occupancy: 8
; WaveLimiterHint : 0
; COMPUTE_PGM_RSRC2:SCRATCH_EN: 0
; COMPUTE_PGM_RSRC2:USER_SGPR: 2
; COMPUTE_PGM_RSRC2:TRAP_HANDLER: 0
; COMPUTE_PGM_RSRC2:TGID_X_EN: 1
; COMPUTE_PGM_RSRC2:TGID_Y_EN: 1
; COMPUTE_PGM_RSRC2:TGID_Z_EN: 0
; COMPUTE_PGM_RSRC2:TIDIG_COMP_CNT: 1
; COMPUTE_PGM_RSRC3_GFX90A:ACCUM_OFFSET: 10
; COMPUTE_PGM_RSRC3_GFX90A:TG_SPLIT: 0
	.section	.text._ZN9rocsparseL33gebsrmm_large_blockdim_kernel_extILi32ELi32ELi2E21rocsparse_complex_numIdEEEv20rocsparse_direction_20rocsparse_operation_iiNS_24const_host_device_scalarIT2_EEPKiS9_PKS6_iiSB_lS7_PS6_l21rocsparse_index_base_b,"axG",@progbits,_ZN9rocsparseL33gebsrmm_large_blockdim_kernel_extILi32ELi32ELi2E21rocsparse_complex_numIdEEEv20rocsparse_direction_20rocsparse_operation_iiNS_24const_host_device_scalarIT2_EEPKiS9_PKS6_iiSB_lS7_PS6_l21rocsparse_index_base_b,comdat
	.globl	_ZN9rocsparseL33gebsrmm_large_blockdim_kernel_extILi32ELi32ELi2E21rocsparse_complex_numIdEEEv20rocsparse_direction_20rocsparse_operation_iiNS_24const_host_device_scalarIT2_EEPKiS9_PKS6_iiSB_lS7_PS6_l21rocsparse_index_base_b ; -- Begin function _ZN9rocsparseL33gebsrmm_large_blockdim_kernel_extILi32ELi32ELi2E21rocsparse_complex_numIdEEEv20rocsparse_direction_20rocsparse_operation_iiNS_24const_host_device_scalarIT2_EEPKiS9_PKS6_iiSB_lS7_PS6_l21rocsparse_index_base_b
	.p2align	8
	.type	_ZN9rocsparseL33gebsrmm_large_blockdim_kernel_extILi32ELi32ELi2E21rocsparse_complex_numIdEEEv20rocsparse_direction_20rocsparse_operation_iiNS_24const_host_device_scalarIT2_EEPKiS9_PKS6_iiSB_lS7_PS6_l21rocsparse_index_base_b,@function
_ZN9rocsparseL33gebsrmm_large_blockdim_kernel_extILi32ELi32ELi2E21rocsparse_complex_numIdEEEv20rocsparse_direction_20rocsparse_operation_iiNS_24const_host_device_scalarIT2_EEPKiS9_PKS6_iiSB_lS7_PS6_l21rocsparse_index_base_b: ; @_ZN9rocsparseL33gebsrmm_large_blockdim_kernel_extILi32ELi32ELi2E21rocsparse_complex_numIdEEEv20rocsparse_direction_20rocsparse_operation_iiNS_24const_host_device_scalarIT2_EEPKiS9_PKS6_iiSB_lS7_PS6_l21rocsparse_index_base_b
; %bb.0:
	s_load_dwordx2 s[4:5], s[0:1], 0x10
	s_load_dwordx4 s[16:19], s[0:1], 0x48
	s_load_dwordx2 s[24:25], s[0:1], 0x70
	s_add_u32 s6, s0, 16
	s_addc_u32 s7, s1, 0
	s_add_u32 s8, s0, 0x50
	s_addc_u32 s9, s1, 0
	s_waitcnt lgkmcnt(0)
	s_bitcmp1_b32 s25, 0
	s_cselect_b32 s5, s7, s5
	s_cselect_b32 s4, s6, s4
	v_mov_b32_e32 v2, s4
	v_mov_b32_e32 v3, s5
	flat_load_dwordx4 v[6:9], v[2:3]
	s_cselect_b32 s4, s9, s19
	s_cselect_b32 s5, s8, s18
	v_mov_b32_e32 v2, s5
	v_mov_b32_e32 v3, s4
	flat_load_dwordx4 v[2:5], v[2:3]
	s_waitcnt vmcnt(0) lgkmcnt(0)
	v_cmp_eq_f64_e32 vcc, 0, v[6:7]
	v_cmp_eq_f64_e64 s[4:5], 0, v[8:9]
	s_and_b64 s[8:9], vcc, s[4:5]
	s_mov_b64 s[4:5], -1
	s_and_saveexec_b64 s[6:7], s[8:9]
; %bb.1:
	v_cmp_neq_f64_e32 vcc, 1.0, v[2:3]
	v_cmp_neq_f64_e64 s[4:5], 0, v[4:5]
	s_or_b64 s[4:5], vcc, s[4:5]
	s_orn2_b64 s[4:5], s[4:5], exec
; %bb.2:
	s_or_b64 exec, exec, s[6:7]
	s_and_saveexec_b64 s[6:7], s[4:5]
	s_cbranch_execz .LBB11_44
; %bb.3:
	s_load_dwordx4 s[12:15], s[0:1], 0x0
	s_mov_b32 s30, 0
	s_mov_b32 s25, 0
	s_waitcnt lgkmcnt(0)
	s_cmp_lt_i32 s2, s14
	s_cselect_b64 s[18:19], -1, 0
	s_cmp_ge_i32 s2, s14
	s_cbranch_scc1 .LBB11_5
; %bb.4:
	s_load_dwordx2 s[6:7], s[0:1], 0x20
	s_mov_b32 s4, s3
	s_ashr_i32 s3, s2, 31
	s_lshl_b64 s[8:9], s[2:3], 2
	s_mov_b32 s3, s4
	s_waitcnt lgkmcnt(0)
	s_add_u32 s4, s6, s8
	s_addc_u32 s5, s7, s9
	s_load_dwordx2 s[6:7], s[4:5], 0x0
	s_waitcnt lgkmcnt(0)
	s_sub_i32 s30, s6, s24
	s_sub_i32 s25, s7, s24
.LBB11_5:
	s_load_dwordx2 s[26:27], s[0:1], 0x60
	s_load_dwordx2 s[28:29], s[0:1], 0x38
	v_bfe_u32 v22, v0, 10, 10
	v_lshl_add_u32 v16, s3, 6, v22
	v_add_u32_e32 v14, 32, v16
	v_and_b32_e32 v10, 0x3ff, v0
	v_cmp_gt_i32_e64 s[6:7], s15, v16
	v_cmp_gt_i32_e64 s[4:5], s15, v14
	s_waitcnt lgkmcnt(0)
	v_cmp_gt_i32_e64 s[8:9], s28, v10
	v_mov_b64_e32 v[18:19], 0
	s_cmp_ge_i32 s30, s25
	v_mov_b64_e32 v[0:1], 0
	v_mov_b64_e32 v[12:13], 0
	;; [unrolled: 1-line block ×3, first 2 shown]
	s_cbranch_scc1 .LBB11_33
; %bb.6:
	v_cmp_gt_i32_e32 vcc, s29, v22
	s_and_b64 s[34:35], s[8:9], vcc
	s_cmpk_lg_i32 s13, 0x6f
	v_lshlrev_b32_e32 v11, 9, v22
	s_cselect_b64 s[40:41], -1, 0
	s_cmp_eq_u32 s12, 0
	v_mad_u64_u32 v[0:1], s[12:13], s28, v22, v[10:11]
	s_load_dwordx4 s[20:23], s[0:1], 0x28
	s_load_dwordx2 s[14:15], s[0:1], 0x40
	v_mov_b32_e32 v1, 0x8000
	v_mad_u64_u32 v[12:13], s[12:13], s29, v10, v[22:23]
	v_lshl_add_u32 v33, v10, 9, v1
	v_ashrrev_i32_e32 v17, 31, v16
	s_cselect_b64 vcc, -1, 0
	v_lshl_add_u32 v34, v22, 4, v33
	s_cmp_gt_i32 s29, 0
	v_ashrrev_i32_e32 v15, 31, v14
	v_mul_lo_u32 v1, s17, v16
	v_mul_lo_u32 v13, s16, v17
	v_mad_u64_u32 v[22:23], s[36:37], s16, v16, 0
	v_lshl_add_u32 v32, v10, 4, v11
	s_cselect_b64 s[12:13], -1, 0
	v_add3_u32 v23, v23, v13, v1
	v_mul_lo_u32 v1, s17, v14
	v_mul_lo_u32 v13, s16, v15
	v_mad_u64_u32 v[24:25], s[36:37], s16, v14, 0
	v_cndmask_b32_e32 v36, v0, v12, vcc
	v_cndmask_b32_e64 v0, 0, 1, s[40:41]
	s_mul_i32 s3, s29, s28
	v_cmp_gt_i32_e64 s[10:11], s29, v10
	v_add_u32_e32 v35, 0x4000, v32
	v_add3_u32 v25, v25, v13, v1
	s_and_b64 s[36:37], s[6:7], s[12:13]
	s_and_b64 s[38:39], s[4:5], s[12:13]
	v_add_u32_e32 v37, 0x4000, v11
	v_mov_b64_e32 v[20:21], 0
	v_cmp_ne_u32_e64 s[12:13], 1, v0
	v_mov_b64_e32 v[12:13], 0
	v_mov_b64_e32 v[0:1], 0
	;; [unrolled: 1-line block ×3, first 2 shown]
	s_branch .LBB11_9
.LBB11_7:                               ;   in Loop: Header=BB11_9 Depth=1
	s_or_b64 exec, exec, s[42:43]
.LBB11_8:                               ;   in Loop: Header=BB11_9 Depth=1
	s_or_b64 exec, exec, s[40:41]
	s_add_i32 s30, s30, 1
	s_cmp_ge_i32 s30, s25
	s_barrier
	s_cbranch_scc1 .LBB11_33
.LBB11_9:                               ; =>This Loop Header: Depth=1
                                        ;     Child Loop BB11_29 Depth 2
                                        ;     Child Loop BB11_32 Depth 2
	s_and_saveexec_b64 s[40:41], s[10:11]
	s_cbranch_execz .LBB11_24
; %bb.10:                               ;   in Loop: Header=BB11_9 Depth=1
	s_ashr_i32 s31, s30, 31
	s_lshl_b64 s[42:43], s[30:31], 2
	s_waitcnt lgkmcnt(0)
	s_add_u32 s42, s20, s42
	s_addc_u32 s43, s21, s43
	s_load_dword s31, s[42:43], 0x0
	s_and_b64 vcc, exec, s[12:13]
	s_waitcnt lgkmcnt(0)
	s_sub_i32 s31, s31, s24
	s_mul_i32 s31, s31, s29
	v_add_u32_e32 v26, s31, v10
	v_ashrrev_i32_e32 v27, 31, v26
	s_cbranch_vccnz .LBB11_16
; %bb.11:                               ;   in Loop: Header=BB11_9 Depth=1
	v_mul_lo_u32 v30, s17, v26
	v_mul_lo_u32 v31, s16, v27
	v_mad_u64_u32 v[28:29], s[42:43], s16, v26, 0
	v_add3_u32 v29, v29, v31, v30
	v_lshl_add_u64 v[30:31], v[28:29], 4, s[14:15]
	s_and_saveexec_b64 s[42:43], s[6:7]
	s_cbranch_execz .LBB11_13
; %bb.12:                               ;   in Loop: Header=BB11_9 Depth=1
	v_lshl_add_u64 v[28:29], v[16:17], 4, v[30:31]
	global_load_dwordx4 v[38:41], v[28:29], off
	s_waitcnt vmcnt(0)
	ds_write2_b64 v32, v[38:39], v[40:41] offset1:1
.LBB11_13:                              ;   in Loop: Header=BB11_9 Depth=1
	s_or_b64 exec, exec, s[42:43]
	s_mov_b64 s[44:45], 0
	s_mov_b64 s[42:43], 0
                                        ; implicit-def: $vgpr28_vgpr29
	s_and_saveexec_b64 s[46:47], s[4:5]
	s_xor_b64 s[46:47], exec, s[46:47]
; %bb.14:                               ;   in Loop: Header=BB11_9 Depth=1
	s_mov_b64 s[42:43], exec
	v_lshl_add_u64 v[28:29], v[14:15], 4, v[30:31]
; %bb.15:                               ;   in Loop: Header=BB11_9 Depth=1
	s_or_b64 exec, exec, s[46:47]
	s_and_b64 vcc, exec, s[44:45]
	s_cbranch_vccnz .LBB11_17
	s_branch .LBB11_22
.LBB11_16:                              ;   in Loop: Header=BB11_9 Depth=1
	s_mov_b64 s[42:43], 0
                                        ; implicit-def: $vgpr28_vgpr29
	s_cbranch_execz .LBB11_22
.LBB11_17:                              ;   in Loop: Header=BB11_9 Depth=1
	v_lshl_add_u64 v[26:27], v[26:27], 4, s[14:15]
	s_and_saveexec_b64 s[44:45], s[6:7]
	s_cbranch_execz .LBB11_19
; %bb.18:                               ;   in Loop: Header=BB11_9 Depth=1
	v_lshl_add_u64 v[28:29], v[22:23], 4, v[26:27]
	global_load_dwordx4 v[28:31], v[28:29], off
	s_waitcnt vmcnt(0)
	ds_write2_b64 v32, v[28:29], v[30:31] offset1:1
.LBB11_19:                              ;   in Loop: Header=BB11_9 Depth=1
	s_or_b64 exec, exec, s[44:45]
                                        ; implicit-def: $vgpr28_vgpr29
	s_and_saveexec_b64 s[44:45], s[4:5]
; %bb.20:                               ;   in Loop: Header=BB11_9 Depth=1
	v_lshl_add_u64 v[28:29], v[24:25], 4, v[26:27]
	s_or_b64 s[42:43], s[42:43], exec
; %bb.21:                               ;   in Loop: Header=BB11_9 Depth=1
	s_or_b64 exec, exec, s[44:45]
.LBB11_22:                              ;   in Loop: Header=BB11_9 Depth=1
	s_and_b64 exec, exec, s[42:43]
	s_cbranch_execz .LBB11_24
; %bb.23:                               ;   in Loop: Header=BB11_9 Depth=1
	global_load_dwordx4 v[26:29], v[28:29], off
	s_waitcnt vmcnt(0)
	ds_write2_b64 v35, v[26:27], v[28:29] offset1:1
.LBB11_24:                              ;   in Loop: Header=BB11_9 Depth=1
	s_or_b64 exec, exec, s[40:41]
	s_and_saveexec_b64 s[40:41], s[34:35]
	s_cbranch_execz .LBB11_26
; %bb.25:                               ;   in Loop: Header=BB11_9 Depth=1
	s_mul_i32 s31, s3, s30
	v_add_u32_e32 v26, s31, v36
	v_ashrrev_i32_e32 v27, 31, v26
	s_waitcnt lgkmcnt(0)
	v_lshl_add_u64 v[26:27], v[26:27], 4, s[22:23]
	global_load_dwordx4 v[26:29], v[26:27], off
	s_waitcnt vmcnt(0)
	ds_write2_b64 v34, v[26:27], v[28:29] offset1:1
.LBB11_26:                              ;   in Loop: Header=BB11_9 Depth=1
	s_or_b64 exec, exec, s[40:41]
	s_waitcnt lgkmcnt(0)
	s_barrier
	s_and_saveexec_b64 s[40:41], s[8:9]
	s_cbranch_execz .LBB11_8
; %bb.27:                               ;   in Loop: Header=BB11_9 Depth=1
	s_and_saveexec_b64 s[42:43], s[36:37]
	s_cbranch_execz .LBB11_30
; %bb.28:                               ;   in Loop: Header=BB11_9 Depth=1
	v_mov_b32_e32 v26, v33
	v_mov_b32_e32 v27, v11
	s_mov_b32 s31, s29
.LBB11_29:                              ;   Parent Loop BB11_9 Depth=1
                                        ; =>  This Inner Loop Header: Depth=2
	ds_read_b128 v[28:31], v26
	ds_read_b128 v[38:41], v27
	s_add_i32 s31, s31, -1
	v_add_u32_e32 v27, 16, v27
	v_add_u32_e32 v26, 16, v26
	s_cmp_lg_u32 s31, 0
	s_waitcnt lgkmcnt(0)
	v_fmac_f64_e32 v[20:21], v[28:29], v[38:39]
	v_fmac_f64_e32 v[12:13], v[30:31], v[38:39]
	v_fma_f64 v[20:21], -v[30:31], v[40:41], v[20:21]
	v_fmac_f64_e32 v[12:13], v[28:29], v[40:41]
	s_cbranch_scc1 .LBB11_29
.LBB11_30:                              ;   in Loop: Header=BB11_9 Depth=1
	s_or_b64 exec, exec, s[42:43]
	s_and_saveexec_b64 s[42:43], s[38:39]
	s_cbranch_execz .LBB11_7
; %bb.31:                               ;   in Loop: Header=BB11_9 Depth=1
	v_mov_b32_e32 v26, v33
	s_mov_b32 s31, s29
	v_mov_b32_e32 v27, v37
.LBB11_32:                              ;   Parent Loop BB11_9 Depth=1
                                        ; =>  This Inner Loop Header: Depth=2
	ds_read_b128 v[28:31], v26
	ds_read_b128 v[38:41], v27
	s_add_i32 s31, s31, -1
	v_add_u32_e32 v27, 16, v27
	v_add_u32_e32 v26, 16, v26
	s_cmp_lg_u32 s31, 0
	s_waitcnt lgkmcnt(0)
	v_fmac_f64_e32 v[0:1], v[28:29], v[38:39]
	v_fmac_f64_e32 v[18:19], v[30:31], v[38:39]
	v_fma_f64 v[0:1], -v[30:31], v[40:41], v[0:1]
	v_fmac_f64_e32 v[18:19], v[28:29], v[40:41]
	s_cbranch_scc1 .LBB11_32
	s_branch .LBB11_7
.LBB11_33:
	s_and_b64 s[8:9], s[18:19], s[8:9]
	s_and_b64 exec, exec, s[8:9]
	s_cbranch_execz .LBB11_44
; %bb.34:
	s_mul_i32 s2, s28, s2
	v_add_u32_e32 v10, s2, v10
	s_load_dwordx2 s[2:3], s[0:1], 0x68
	v_cmp_neq_f64_e32 vcc, 0, v[2:3]
	v_cmp_neq_f64_e64 s[0:1], 0, v[4:5]
	v_ashrrev_i32_e32 v11, 31, v10
	s_or_b64 s[0:1], vcc, s[0:1]
	v_lshl_add_u64 v[22:23], v[10:11], 4, s[26:27]
	s_and_saveexec_b64 s[8:9], s[6:7]
	s_cbranch_execz .LBB11_39
; %bb.35:
	v_ashrrev_i32_e32 v15, 31, v16
	v_mul_f64 v[10:11], v[12:13], -v[8:9]
	v_mul_f64 v[12:13], v[6:7], v[12:13]
	s_waitcnt lgkmcnt(0)
	v_mul_lo_u32 v17, s3, v16
	v_mul_lo_u32 v15, s2, v15
	v_fmac_f64_e32 v[10:11], v[6:7], v[20:21]
	v_fmac_f64_e32 v[12:13], v[8:9], v[20:21]
	s_and_saveexec_b64 s[6:7], s[0:1]
	s_xor_b64 s[6:7], exec, s[6:7]
	s_cbranch_execz .LBB11_37
; %bb.36:
	v_mad_u64_u32 v[20:21], s[10:11], s2, v16, 0
	v_add3_u32 v21, v21, v15, v17
	v_lshl_add_u64 v[16:17], v[20:21], 4, v[22:23]
	global_load_dwordx4 v[24:27], v[16:17], off
                                        ; implicit-def: $vgpr15
	s_waitcnt vmcnt(0)
	v_fmac_f64_e32 v[10:11], v[2:3], v[24:25]
	v_fmac_f64_e32 v[12:13], v[4:5], v[24:25]
	v_fma_f64 v[10:11], -v[4:5], v[26:27], v[10:11]
	v_fmac_f64_e32 v[12:13], v[2:3], v[26:27]
	global_store_dwordx4 v[16:17], v[10:13], off
                                        ; implicit-def: $vgpr16
                                        ; implicit-def: $vgpr17
                                        ; implicit-def: $vgpr10_vgpr11
.LBB11_37:
	s_andn2_saveexec_b64 s[6:7], s[6:7]
	s_cbranch_execz .LBB11_39
; %bb.38:
	v_mad_u64_u32 v[20:21], s[6:7], s2, v16, 0
	v_add3_u32 v21, v21, v15, v17
	v_lshl_add_u64 v[16:17], v[20:21], 4, v[22:23]
	global_store_dwordx4 v[16:17], v[10:13], off
.LBB11_39:
	s_or_b64 exec, exec, s[8:9]
	s_and_b64 exec, exec, s[4:5]
	s_cbranch_execz .LBB11_44
; %bb.40:
	v_ashrrev_i32_e32 v15, 31, v14
	v_mul_f64 v[10:11], v[18:19], -v[8:9]
	v_mul_f64 v[12:13], v[6:7], v[18:19]
	s_waitcnt lgkmcnt(0)
	v_mul_lo_u32 v16, s3, v14
	v_mul_lo_u32 v15, s2, v15
	v_fmac_f64_e32 v[10:11], v[6:7], v[0:1]
	v_fmac_f64_e32 v[12:13], v[8:9], v[0:1]
	s_and_saveexec_b64 s[4:5], s[0:1]
	s_xor_b64 s[0:1], exec, s[4:5]
	s_cbranch_execz .LBB11_42
; %bb.41:
	v_mad_u64_u32 v[0:1], s[4:5], s2, v14, 0
	v_add3_u32 v1, v1, v15, v16
	v_lshl_add_u64 v[0:1], v[0:1], 4, v[22:23]
	global_load_dwordx4 v[6:9], v[0:1], off
                                        ; implicit-def: $vgpr14
                                        ; implicit-def: $vgpr15
                                        ; implicit-def: $vgpr16
                                        ; implicit-def: $vgpr22_vgpr23
	s_waitcnt vmcnt(0)
	v_fmac_f64_e32 v[10:11], v[2:3], v[6:7]
	v_fmac_f64_e32 v[12:13], v[4:5], v[6:7]
	v_fma_f64 v[10:11], -v[4:5], v[8:9], v[10:11]
	v_fmac_f64_e32 v[12:13], v[2:3], v[8:9]
	global_store_dwordx4 v[0:1], v[10:13], off
                                        ; implicit-def: $vgpr10_vgpr11
.LBB11_42:
	s_andn2_saveexec_b64 s[0:1], s[0:1]
	s_cbranch_execz .LBB11_44
; %bb.43:
	v_mad_u64_u32 v[0:1], s[0:1], s2, v14, 0
	v_add3_u32 v1, v1, v15, v16
	v_lshl_add_u64 v[0:1], v[0:1], 4, v[22:23]
	global_store_dwordx4 v[0:1], v[10:13], off
.LBB11_44:
	s_endpgm
	.section	.rodata,"a",@progbits
	.p2align	6, 0x0
	.amdhsa_kernel _ZN9rocsparseL33gebsrmm_large_blockdim_kernel_extILi32ELi32ELi2E21rocsparse_complex_numIdEEEv20rocsparse_direction_20rocsparse_operation_iiNS_24const_host_device_scalarIT2_EEPKiS9_PKS6_iiSB_lS7_PS6_l21rocsparse_index_base_b
		.amdhsa_group_segment_fixed_size 49152
		.amdhsa_private_segment_fixed_size 0
		.amdhsa_kernarg_size 120
		.amdhsa_user_sgpr_count 2
		.amdhsa_user_sgpr_dispatch_ptr 0
		.amdhsa_user_sgpr_queue_ptr 0
		.amdhsa_user_sgpr_kernarg_segment_ptr 1
		.amdhsa_user_sgpr_dispatch_id 0
		.amdhsa_user_sgpr_kernarg_preload_length 0
		.amdhsa_user_sgpr_kernarg_preload_offset 0
		.amdhsa_user_sgpr_private_segment_size 0
		.amdhsa_uses_dynamic_stack 0
		.amdhsa_enable_private_segment 0
		.amdhsa_system_sgpr_workgroup_id_x 1
		.amdhsa_system_sgpr_workgroup_id_y 1
		.amdhsa_system_sgpr_workgroup_id_z 0
		.amdhsa_system_sgpr_workgroup_info 0
		.amdhsa_system_vgpr_workitem_id 1
		.amdhsa_next_free_vgpr 42
		.amdhsa_next_free_sgpr 48
		.amdhsa_accum_offset 44
		.amdhsa_reserve_vcc 1
		.amdhsa_float_round_mode_32 0
		.amdhsa_float_round_mode_16_64 0
		.amdhsa_float_denorm_mode_32 3
		.amdhsa_float_denorm_mode_16_64 3
		.amdhsa_dx10_clamp 1
		.amdhsa_ieee_mode 1
		.amdhsa_fp16_overflow 0
		.amdhsa_tg_split 0
		.amdhsa_exception_fp_ieee_invalid_op 0
		.amdhsa_exception_fp_denorm_src 0
		.amdhsa_exception_fp_ieee_div_zero 0
		.amdhsa_exception_fp_ieee_overflow 0
		.amdhsa_exception_fp_ieee_underflow 0
		.amdhsa_exception_fp_ieee_inexact 0
		.amdhsa_exception_int_div_zero 0
	.end_amdhsa_kernel
	.section	.text._ZN9rocsparseL33gebsrmm_large_blockdim_kernel_extILi32ELi32ELi2E21rocsparse_complex_numIdEEEv20rocsparse_direction_20rocsparse_operation_iiNS_24const_host_device_scalarIT2_EEPKiS9_PKS6_iiSB_lS7_PS6_l21rocsparse_index_base_b,"axG",@progbits,_ZN9rocsparseL33gebsrmm_large_blockdim_kernel_extILi32ELi32ELi2E21rocsparse_complex_numIdEEEv20rocsparse_direction_20rocsparse_operation_iiNS_24const_host_device_scalarIT2_EEPKiS9_PKS6_iiSB_lS7_PS6_l21rocsparse_index_base_b,comdat
.Lfunc_end11:
	.size	_ZN9rocsparseL33gebsrmm_large_blockdim_kernel_extILi32ELi32ELi2E21rocsparse_complex_numIdEEEv20rocsparse_direction_20rocsparse_operation_iiNS_24const_host_device_scalarIT2_EEPKiS9_PKS6_iiSB_lS7_PS6_l21rocsparse_index_base_b, .Lfunc_end11-_ZN9rocsparseL33gebsrmm_large_blockdim_kernel_extILi32ELi32ELi2E21rocsparse_complex_numIdEEEv20rocsparse_direction_20rocsparse_operation_iiNS_24const_host_device_scalarIT2_EEPKiS9_PKS6_iiSB_lS7_PS6_l21rocsparse_index_base_b
                                        ; -- End function
	.set _ZN9rocsparseL33gebsrmm_large_blockdim_kernel_extILi32ELi32ELi2E21rocsparse_complex_numIdEEEv20rocsparse_direction_20rocsparse_operation_iiNS_24const_host_device_scalarIT2_EEPKiS9_PKS6_iiSB_lS7_PS6_l21rocsparse_index_base_b.num_vgpr, 42
	.set _ZN9rocsparseL33gebsrmm_large_blockdim_kernel_extILi32ELi32ELi2E21rocsparse_complex_numIdEEEv20rocsparse_direction_20rocsparse_operation_iiNS_24const_host_device_scalarIT2_EEPKiS9_PKS6_iiSB_lS7_PS6_l21rocsparse_index_base_b.num_agpr, 0
	.set _ZN9rocsparseL33gebsrmm_large_blockdim_kernel_extILi32ELi32ELi2E21rocsparse_complex_numIdEEEv20rocsparse_direction_20rocsparse_operation_iiNS_24const_host_device_scalarIT2_EEPKiS9_PKS6_iiSB_lS7_PS6_l21rocsparse_index_base_b.numbered_sgpr, 48
	.set _ZN9rocsparseL33gebsrmm_large_blockdim_kernel_extILi32ELi32ELi2E21rocsparse_complex_numIdEEEv20rocsparse_direction_20rocsparse_operation_iiNS_24const_host_device_scalarIT2_EEPKiS9_PKS6_iiSB_lS7_PS6_l21rocsparse_index_base_b.num_named_barrier, 0
	.set _ZN9rocsparseL33gebsrmm_large_blockdim_kernel_extILi32ELi32ELi2E21rocsparse_complex_numIdEEEv20rocsparse_direction_20rocsparse_operation_iiNS_24const_host_device_scalarIT2_EEPKiS9_PKS6_iiSB_lS7_PS6_l21rocsparse_index_base_b.private_seg_size, 0
	.set _ZN9rocsparseL33gebsrmm_large_blockdim_kernel_extILi32ELi32ELi2E21rocsparse_complex_numIdEEEv20rocsparse_direction_20rocsparse_operation_iiNS_24const_host_device_scalarIT2_EEPKiS9_PKS6_iiSB_lS7_PS6_l21rocsparse_index_base_b.uses_vcc, 1
	.set _ZN9rocsparseL33gebsrmm_large_blockdim_kernel_extILi32ELi32ELi2E21rocsparse_complex_numIdEEEv20rocsparse_direction_20rocsparse_operation_iiNS_24const_host_device_scalarIT2_EEPKiS9_PKS6_iiSB_lS7_PS6_l21rocsparse_index_base_b.uses_flat_scratch, 0
	.set _ZN9rocsparseL33gebsrmm_large_blockdim_kernel_extILi32ELi32ELi2E21rocsparse_complex_numIdEEEv20rocsparse_direction_20rocsparse_operation_iiNS_24const_host_device_scalarIT2_EEPKiS9_PKS6_iiSB_lS7_PS6_l21rocsparse_index_base_b.has_dyn_sized_stack, 0
	.set _ZN9rocsparseL33gebsrmm_large_blockdim_kernel_extILi32ELi32ELi2E21rocsparse_complex_numIdEEEv20rocsparse_direction_20rocsparse_operation_iiNS_24const_host_device_scalarIT2_EEPKiS9_PKS6_iiSB_lS7_PS6_l21rocsparse_index_base_b.has_recursion, 0
	.set _ZN9rocsparseL33gebsrmm_large_blockdim_kernel_extILi32ELi32ELi2E21rocsparse_complex_numIdEEEv20rocsparse_direction_20rocsparse_operation_iiNS_24const_host_device_scalarIT2_EEPKiS9_PKS6_iiSB_lS7_PS6_l21rocsparse_index_base_b.has_indirect_call, 0
	.section	.AMDGPU.csdata,"",@progbits
; Kernel info:
; codeLenInByte = 1564
; TotalNumSgprs: 54
; NumVgprs: 42
; NumAgprs: 0
; TotalNumVgprs: 42
; ScratchSize: 0
; MemoryBound: 0
; FloatMode: 240
; IeeeMode: 1
; LDSByteSize: 49152 bytes/workgroup (compile time only)
; SGPRBlocks: 6
; VGPRBlocks: 5
; NumSGPRsForWavesPerEU: 54
; NumVGPRsForWavesPerEU: 42
; AccumOffset: 44
; Occupancy: 8
; WaveLimiterHint : 0
; COMPUTE_PGM_RSRC2:SCRATCH_EN: 0
; COMPUTE_PGM_RSRC2:USER_SGPR: 2
; COMPUTE_PGM_RSRC2:TRAP_HANDLER: 0
; COMPUTE_PGM_RSRC2:TGID_X_EN: 1
; COMPUTE_PGM_RSRC2:TGID_Y_EN: 1
; COMPUTE_PGM_RSRC2:TGID_Z_EN: 0
; COMPUTE_PGM_RSRC2:TIDIG_COMP_CNT: 1
; COMPUTE_PGM_RSRC3_GFX90A:ACCUM_OFFSET: 10
; COMPUTE_PGM_RSRC3_GFX90A:TG_SPLIT: 0
	.section	.AMDGPU.gpr_maximums,"",@progbits
	.set amdgpu.max_num_vgpr, 0
	.set amdgpu.max_num_agpr, 0
	.set amdgpu.max_num_sgpr, 0
	.section	.AMDGPU.csdata,"",@progbits
	.type	__hip_cuid_d0c232ab40c6ff68,@object ; @__hip_cuid_d0c232ab40c6ff68
	.section	.bss,"aw",@nobits
	.globl	__hip_cuid_d0c232ab40c6ff68
__hip_cuid_d0c232ab40c6ff68:
	.byte	0                               ; 0x0
	.size	__hip_cuid_d0c232ab40c6ff68, 1

	.ident	"AMD clang version 22.0.0git (https://github.com/RadeonOpenCompute/llvm-project roc-7.2.4 26084 f58b06dce1f9c15707c5f808fd002e18c2accf7e)"
	.section	".note.GNU-stack","",@progbits
	.addrsig
	.addrsig_sym __hip_cuid_d0c232ab40c6ff68
	.amdgpu_metadata
---
amdhsa.kernels:
  - .agpr_count:     0
    .args:
      - .offset:         0
        .size:           4
        .value_kind:     by_value
      - .offset:         4
        .size:           4
        .value_kind:     by_value
      - .offset:         8
        .size:           4
        .value_kind:     by_value
      - .offset:         12
        .size:           4
        .value_kind:     by_value
      - .offset:         16
        .size:           8
        .value_kind:     by_value
      - .actual_access:  read_only
        .address_space:  global
        .offset:         24
        .size:           8
        .value_kind:     global_buffer
      - .actual_access:  read_only
        .address_space:  global
        .offset:         32
        .size:           8
        .value_kind:     global_buffer
      - .actual_access:  read_only
        .address_space:  global
        .offset:         40
        .size:           8
        .value_kind:     global_buffer
      - .offset:         48
        .size:           4
        .value_kind:     by_value
      - .offset:         52
        .size:           4
        .value_kind:     by_value
      - .actual_access:  read_only
        .address_space:  global
        .offset:         56
        .size:           8
        .value_kind:     global_buffer
      - .offset:         64
        .size:           8
        .value_kind:     by_value
      - .offset:         72
        .size:           8
        .value_kind:     by_value
      - .address_space:  global
        .offset:         80
        .size:           8
        .value_kind:     global_buffer
      - .offset:         88
        .size:           8
        .value_kind:     by_value
      - .offset:         96
        .size:           4
        .value_kind:     by_value
      - .offset:         100
        .size:           1
        .value_kind:     by_value
    .group_segment_fixed_size: 768
    .kernarg_segment_align: 8
    .kernarg_segment_size: 104
    .language:       OpenCL C
    .language_version:
      - 2
      - 0
    .max_flat_workgroup_size: 64
    .name:           _ZN9rocsparseL33gebsrmm_large_blockdim_kernel_extILi8ELi8ELi2EfEEv20rocsparse_direction_20rocsparse_operation_iiNS_24const_host_device_scalarIT2_EEPKiS7_PKS4_iiS9_lS5_PS4_l21rocsparse_index_base_b
    .private_segment_fixed_size: 0
    .sgpr_count:     58
    .sgpr_spill_count: 0
    .symbol:         _ZN9rocsparseL33gebsrmm_large_blockdim_kernel_extILi8ELi8ELi2EfEEv20rocsparse_direction_20rocsparse_operation_iiNS_24const_host_device_scalarIT2_EEPKiS7_PKS4_iiS9_lS5_PS4_l21rocsparse_index_base_b.kd
    .uniform_work_group_size: 1
    .uses_dynamic_stack: false
    .vgpr_count:     23
    .vgpr_spill_count: 0
    .wavefront_size: 64
  - .agpr_count:     0
    .args:
      - .offset:         0
        .size:           4
        .value_kind:     by_value
      - .offset:         4
        .size:           4
        .value_kind:     by_value
      - .offset:         8
        .size:           4
        .value_kind:     by_value
      - .offset:         12
        .size:           4
        .value_kind:     by_value
      - .offset:         16
        .size:           8
        .value_kind:     by_value
      - .actual_access:  read_only
        .address_space:  global
        .offset:         24
        .size:           8
        .value_kind:     global_buffer
      - .actual_access:  read_only
        .address_space:  global
        .offset:         32
        .size:           8
        .value_kind:     global_buffer
      - .actual_access:  read_only
        .address_space:  global
        .offset:         40
        .size:           8
        .value_kind:     global_buffer
      - .offset:         48
        .size:           4
        .value_kind:     by_value
      - .offset:         52
        .size:           4
        .value_kind:     by_value
      - .actual_access:  read_only
        .address_space:  global
        .offset:         56
        .size:           8
        .value_kind:     global_buffer
      - .offset:         64
        .size:           8
        .value_kind:     by_value
      - .offset:         72
        .size:           8
        .value_kind:     by_value
      - .address_space:  global
        .offset:         80
        .size:           8
        .value_kind:     global_buffer
      - .offset:         88
        .size:           8
        .value_kind:     by_value
      - .offset:         96
        .size:           4
        .value_kind:     by_value
      - .offset:         100
        .size:           1
        .value_kind:     by_value
    .group_segment_fixed_size: 3072
    .kernarg_segment_align: 8
    .kernarg_segment_size: 104
    .language:       OpenCL C
    .language_version:
      - 2
      - 0
    .max_flat_workgroup_size: 256
    .name:           _ZN9rocsparseL33gebsrmm_large_blockdim_kernel_extILi16ELi16ELi2EfEEv20rocsparse_direction_20rocsparse_operation_iiNS_24const_host_device_scalarIT2_EEPKiS7_PKS4_iiS9_lS5_PS4_l21rocsparse_index_base_b
    .private_segment_fixed_size: 0
    .sgpr_count:     58
    .sgpr_spill_count: 0
    .symbol:         _ZN9rocsparseL33gebsrmm_large_blockdim_kernel_extILi16ELi16ELi2EfEEv20rocsparse_direction_20rocsparse_operation_iiNS_24const_host_device_scalarIT2_EEPKiS7_PKS4_iiS9_lS5_PS4_l21rocsparse_index_base_b.kd
    .uniform_work_group_size: 1
    .uses_dynamic_stack: false
    .vgpr_count:     23
    .vgpr_spill_count: 0
    .wavefront_size: 64
  - .agpr_count:     0
    .args:
      - .offset:         0
        .size:           4
        .value_kind:     by_value
      - .offset:         4
        .size:           4
        .value_kind:     by_value
      - .offset:         8
        .size:           4
        .value_kind:     by_value
      - .offset:         12
        .size:           4
        .value_kind:     by_value
      - .offset:         16
        .size:           8
        .value_kind:     by_value
      - .actual_access:  read_only
        .address_space:  global
        .offset:         24
        .size:           8
        .value_kind:     global_buffer
      - .actual_access:  read_only
        .address_space:  global
        .offset:         32
        .size:           8
        .value_kind:     global_buffer
      - .actual_access:  read_only
        .address_space:  global
        .offset:         40
        .size:           8
        .value_kind:     global_buffer
      - .offset:         48
        .size:           4
        .value_kind:     by_value
      - .offset:         52
        .size:           4
        .value_kind:     by_value
      - .actual_access:  read_only
        .address_space:  global
        .offset:         56
        .size:           8
        .value_kind:     global_buffer
      - .offset:         64
        .size:           8
        .value_kind:     by_value
      - .offset:         72
        .size:           8
        .value_kind:     by_value
      - .address_space:  global
        .offset:         80
        .size:           8
        .value_kind:     global_buffer
      - .offset:         88
        .size:           8
        .value_kind:     by_value
      - .offset:         96
        .size:           4
        .value_kind:     by_value
      - .offset:         100
        .size:           1
        .value_kind:     by_value
    .group_segment_fixed_size: 12288
    .kernarg_segment_align: 8
    .kernarg_segment_size: 104
    .language:       OpenCL C
    .language_version:
      - 2
      - 0
    .max_flat_workgroup_size: 1024
    .name:           _ZN9rocsparseL33gebsrmm_large_blockdim_kernel_extILi32ELi32ELi2EfEEv20rocsparse_direction_20rocsparse_operation_iiNS_24const_host_device_scalarIT2_EEPKiS7_PKS4_iiS9_lS5_PS4_l21rocsparse_index_base_b
    .private_segment_fixed_size: 0
    .sgpr_count:     58
    .sgpr_spill_count: 0
    .symbol:         _ZN9rocsparseL33gebsrmm_large_blockdim_kernel_extILi32ELi32ELi2EfEEv20rocsparse_direction_20rocsparse_operation_iiNS_24const_host_device_scalarIT2_EEPKiS7_PKS4_iiS9_lS5_PS4_l21rocsparse_index_base_b.kd
    .uniform_work_group_size: 1
    .uses_dynamic_stack: false
    .vgpr_count:     23
    .vgpr_spill_count: 0
    .wavefront_size: 64
  - .agpr_count:     0
    .args:
      - .offset:         0
        .size:           4
        .value_kind:     by_value
      - .offset:         4
        .size:           4
        .value_kind:     by_value
      - .offset:         8
        .size:           4
        .value_kind:     by_value
      - .offset:         12
        .size:           4
        .value_kind:     by_value
      - .offset:         16
        .size:           8
        .value_kind:     by_value
      - .actual_access:  read_only
        .address_space:  global
        .offset:         24
        .size:           8
        .value_kind:     global_buffer
      - .actual_access:  read_only
        .address_space:  global
        .offset:         32
        .size:           8
        .value_kind:     global_buffer
      - .actual_access:  read_only
        .address_space:  global
        .offset:         40
        .size:           8
        .value_kind:     global_buffer
      - .offset:         48
        .size:           4
        .value_kind:     by_value
      - .offset:         52
        .size:           4
        .value_kind:     by_value
      - .actual_access:  read_only
        .address_space:  global
        .offset:         56
        .size:           8
        .value_kind:     global_buffer
      - .offset:         64
        .size:           8
        .value_kind:     by_value
      - .offset:         72
        .size:           8
        .value_kind:     by_value
      - .address_space:  global
        .offset:         80
        .size:           8
        .value_kind:     global_buffer
      - .offset:         88
        .size:           8
        .value_kind:     by_value
      - .offset:         96
        .size:           4
        .value_kind:     by_value
      - .offset:         100
        .size:           1
        .value_kind:     by_value
    .group_segment_fixed_size: 1536
    .kernarg_segment_align: 8
    .kernarg_segment_size: 104
    .language:       OpenCL C
    .language_version:
      - 2
      - 0
    .max_flat_workgroup_size: 64
    .name:           _ZN9rocsparseL33gebsrmm_large_blockdim_kernel_extILi8ELi8ELi2EdEEv20rocsparse_direction_20rocsparse_operation_iiNS_24const_host_device_scalarIT2_EEPKiS7_PKS4_iiS9_lS5_PS4_l21rocsparse_index_base_b
    .private_segment_fixed_size: 0
    .sgpr_count:     54
    .sgpr_spill_count: 0
    .symbol:         _ZN9rocsparseL33gebsrmm_large_blockdim_kernel_extILi8ELi8ELi2EdEEv20rocsparse_direction_20rocsparse_operation_iiNS_24const_host_device_scalarIT2_EEPKiS7_PKS4_iiS9_lS5_PS4_l21rocsparse_index_base_b.kd
    .uniform_work_group_size: 1
    .uses_dynamic_stack: false
    .vgpr_count:     29
    .vgpr_spill_count: 0
    .wavefront_size: 64
  - .agpr_count:     0
    .args:
      - .offset:         0
        .size:           4
        .value_kind:     by_value
      - .offset:         4
        .size:           4
        .value_kind:     by_value
      - .offset:         8
        .size:           4
        .value_kind:     by_value
      - .offset:         12
        .size:           4
        .value_kind:     by_value
      - .offset:         16
        .size:           8
        .value_kind:     by_value
      - .actual_access:  read_only
        .address_space:  global
        .offset:         24
        .size:           8
        .value_kind:     global_buffer
      - .actual_access:  read_only
        .address_space:  global
        .offset:         32
        .size:           8
        .value_kind:     global_buffer
      - .actual_access:  read_only
        .address_space:  global
        .offset:         40
        .size:           8
        .value_kind:     global_buffer
      - .offset:         48
        .size:           4
        .value_kind:     by_value
      - .offset:         52
        .size:           4
        .value_kind:     by_value
      - .actual_access:  read_only
        .address_space:  global
        .offset:         56
        .size:           8
        .value_kind:     global_buffer
      - .offset:         64
        .size:           8
        .value_kind:     by_value
      - .offset:         72
        .size:           8
        .value_kind:     by_value
      - .address_space:  global
        .offset:         80
        .size:           8
        .value_kind:     global_buffer
      - .offset:         88
        .size:           8
        .value_kind:     by_value
      - .offset:         96
        .size:           4
        .value_kind:     by_value
      - .offset:         100
        .size:           1
        .value_kind:     by_value
    .group_segment_fixed_size: 6144
    .kernarg_segment_align: 8
    .kernarg_segment_size: 104
    .language:       OpenCL C
    .language_version:
      - 2
      - 0
    .max_flat_workgroup_size: 256
    .name:           _ZN9rocsparseL33gebsrmm_large_blockdim_kernel_extILi16ELi16ELi2EdEEv20rocsparse_direction_20rocsparse_operation_iiNS_24const_host_device_scalarIT2_EEPKiS7_PKS4_iiS9_lS5_PS4_l21rocsparse_index_base_b
    .private_segment_fixed_size: 0
    .sgpr_count:     54
    .sgpr_spill_count: 0
    .symbol:         _ZN9rocsparseL33gebsrmm_large_blockdim_kernel_extILi16ELi16ELi2EdEEv20rocsparse_direction_20rocsparse_operation_iiNS_24const_host_device_scalarIT2_EEPKiS7_PKS4_iiS9_lS5_PS4_l21rocsparse_index_base_b.kd
    .uniform_work_group_size: 1
    .uses_dynamic_stack: false
    .vgpr_count:     29
    .vgpr_spill_count: 0
    .wavefront_size: 64
  - .agpr_count:     0
    .args:
      - .offset:         0
        .size:           4
        .value_kind:     by_value
      - .offset:         4
        .size:           4
        .value_kind:     by_value
      - .offset:         8
        .size:           4
        .value_kind:     by_value
      - .offset:         12
        .size:           4
        .value_kind:     by_value
      - .offset:         16
        .size:           8
        .value_kind:     by_value
      - .actual_access:  read_only
        .address_space:  global
        .offset:         24
        .size:           8
        .value_kind:     global_buffer
      - .actual_access:  read_only
        .address_space:  global
        .offset:         32
        .size:           8
        .value_kind:     global_buffer
      - .actual_access:  read_only
        .address_space:  global
        .offset:         40
        .size:           8
        .value_kind:     global_buffer
      - .offset:         48
        .size:           4
        .value_kind:     by_value
      - .offset:         52
        .size:           4
        .value_kind:     by_value
      - .actual_access:  read_only
        .address_space:  global
        .offset:         56
        .size:           8
        .value_kind:     global_buffer
      - .offset:         64
        .size:           8
        .value_kind:     by_value
      - .offset:         72
        .size:           8
        .value_kind:     by_value
      - .address_space:  global
        .offset:         80
        .size:           8
        .value_kind:     global_buffer
      - .offset:         88
        .size:           8
        .value_kind:     by_value
      - .offset:         96
        .size:           4
        .value_kind:     by_value
      - .offset:         100
        .size:           1
        .value_kind:     by_value
    .group_segment_fixed_size: 24576
    .kernarg_segment_align: 8
    .kernarg_segment_size: 104
    .language:       OpenCL C
    .language_version:
      - 2
      - 0
    .max_flat_workgroup_size: 1024
    .name:           _ZN9rocsparseL33gebsrmm_large_blockdim_kernel_extILi32ELi32ELi2EdEEv20rocsparse_direction_20rocsparse_operation_iiNS_24const_host_device_scalarIT2_EEPKiS7_PKS4_iiS9_lS5_PS4_l21rocsparse_index_base_b
    .private_segment_fixed_size: 0
    .sgpr_count:     54
    .sgpr_spill_count: 0
    .symbol:         _ZN9rocsparseL33gebsrmm_large_blockdim_kernel_extILi32ELi32ELi2EdEEv20rocsparse_direction_20rocsparse_operation_iiNS_24const_host_device_scalarIT2_EEPKiS7_PKS4_iiS9_lS5_PS4_l21rocsparse_index_base_b.kd
    .uniform_work_group_size: 1
    .uses_dynamic_stack: false
    .vgpr_count:     29
    .vgpr_spill_count: 0
    .wavefront_size: 64
  - .agpr_count:     0
    .args:
      - .offset:         0
        .size:           4
        .value_kind:     by_value
      - .offset:         4
        .size:           4
        .value_kind:     by_value
      - .offset:         8
        .size:           4
        .value_kind:     by_value
      - .offset:         12
        .size:           4
        .value_kind:     by_value
      - .offset:         16
        .size:           8
        .value_kind:     by_value
      - .actual_access:  read_only
        .address_space:  global
        .offset:         24
        .size:           8
        .value_kind:     global_buffer
      - .actual_access:  read_only
        .address_space:  global
        .offset:         32
        .size:           8
        .value_kind:     global_buffer
      - .actual_access:  read_only
        .address_space:  global
        .offset:         40
        .size:           8
        .value_kind:     global_buffer
      - .offset:         48
        .size:           4
        .value_kind:     by_value
      - .offset:         52
        .size:           4
        .value_kind:     by_value
      - .actual_access:  read_only
        .address_space:  global
        .offset:         56
        .size:           8
        .value_kind:     global_buffer
      - .offset:         64
        .size:           8
        .value_kind:     by_value
      - .offset:         72
        .size:           8
        .value_kind:     by_value
      - .address_space:  global
        .offset:         80
        .size:           8
        .value_kind:     global_buffer
      - .offset:         88
        .size:           8
        .value_kind:     by_value
      - .offset:         96
        .size:           4
        .value_kind:     by_value
      - .offset:         100
        .size:           1
        .value_kind:     by_value
    .group_segment_fixed_size: 1536
    .kernarg_segment_align: 8
    .kernarg_segment_size: 104
    .language:       OpenCL C
    .language_version:
      - 2
      - 0
    .max_flat_workgroup_size: 64
    .name:           _ZN9rocsparseL33gebsrmm_large_blockdim_kernel_extILi8ELi8ELi2E21rocsparse_complex_numIfEEEv20rocsparse_direction_20rocsparse_operation_iiNS_24const_host_device_scalarIT2_EEPKiS9_PKS6_iiSB_lS7_PS6_l21rocsparse_index_base_b
    .private_segment_fixed_size: 0
    .sgpr_count:     56
    .sgpr_spill_count: 0
    .symbol:         _ZN9rocsparseL33gebsrmm_large_blockdim_kernel_extILi8ELi8ELi2E21rocsparse_complex_numIfEEEv20rocsparse_direction_20rocsparse_operation_iiNS_24const_host_device_scalarIT2_EEPKiS9_PKS6_iiSB_lS7_PS6_l21rocsparse_index_base_b.kd
    .uniform_work_group_size: 1
    .uses_dynamic_stack: false
    .vgpr_count:     32
    .vgpr_spill_count: 0
    .wavefront_size: 64
  - .agpr_count:     0
    .args:
      - .offset:         0
        .size:           4
        .value_kind:     by_value
      - .offset:         4
        .size:           4
        .value_kind:     by_value
      - .offset:         8
        .size:           4
        .value_kind:     by_value
      - .offset:         12
        .size:           4
        .value_kind:     by_value
      - .offset:         16
        .size:           8
        .value_kind:     by_value
      - .actual_access:  read_only
        .address_space:  global
        .offset:         24
        .size:           8
        .value_kind:     global_buffer
      - .actual_access:  read_only
        .address_space:  global
        .offset:         32
        .size:           8
        .value_kind:     global_buffer
      - .actual_access:  read_only
        .address_space:  global
        .offset:         40
        .size:           8
        .value_kind:     global_buffer
      - .offset:         48
        .size:           4
        .value_kind:     by_value
      - .offset:         52
        .size:           4
        .value_kind:     by_value
      - .actual_access:  read_only
        .address_space:  global
        .offset:         56
        .size:           8
        .value_kind:     global_buffer
      - .offset:         64
        .size:           8
        .value_kind:     by_value
      - .offset:         72
        .size:           8
        .value_kind:     by_value
      - .address_space:  global
        .offset:         80
        .size:           8
        .value_kind:     global_buffer
      - .offset:         88
        .size:           8
        .value_kind:     by_value
      - .offset:         96
        .size:           4
        .value_kind:     by_value
      - .offset:         100
        .size:           1
        .value_kind:     by_value
    .group_segment_fixed_size: 6144
    .kernarg_segment_align: 8
    .kernarg_segment_size: 104
    .language:       OpenCL C
    .language_version:
      - 2
      - 0
    .max_flat_workgroup_size: 256
    .name:           _ZN9rocsparseL33gebsrmm_large_blockdim_kernel_extILi16ELi16ELi2E21rocsparse_complex_numIfEEEv20rocsparse_direction_20rocsparse_operation_iiNS_24const_host_device_scalarIT2_EEPKiS9_PKS6_iiSB_lS7_PS6_l21rocsparse_index_base_b
    .private_segment_fixed_size: 0
    .sgpr_count:     56
    .sgpr_spill_count: 0
    .symbol:         _ZN9rocsparseL33gebsrmm_large_blockdim_kernel_extILi16ELi16ELi2E21rocsparse_complex_numIfEEEv20rocsparse_direction_20rocsparse_operation_iiNS_24const_host_device_scalarIT2_EEPKiS9_PKS6_iiSB_lS7_PS6_l21rocsparse_index_base_b.kd
    .uniform_work_group_size: 1
    .uses_dynamic_stack: false
    .vgpr_count:     32
    .vgpr_spill_count: 0
    .wavefront_size: 64
  - .agpr_count:     0
    .args:
      - .offset:         0
        .size:           4
        .value_kind:     by_value
      - .offset:         4
        .size:           4
        .value_kind:     by_value
      - .offset:         8
        .size:           4
        .value_kind:     by_value
      - .offset:         12
        .size:           4
        .value_kind:     by_value
      - .offset:         16
        .size:           8
        .value_kind:     by_value
      - .actual_access:  read_only
        .address_space:  global
        .offset:         24
        .size:           8
        .value_kind:     global_buffer
      - .actual_access:  read_only
        .address_space:  global
        .offset:         32
        .size:           8
        .value_kind:     global_buffer
      - .actual_access:  read_only
        .address_space:  global
        .offset:         40
        .size:           8
        .value_kind:     global_buffer
      - .offset:         48
        .size:           4
        .value_kind:     by_value
      - .offset:         52
        .size:           4
        .value_kind:     by_value
      - .actual_access:  read_only
        .address_space:  global
        .offset:         56
        .size:           8
        .value_kind:     global_buffer
      - .offset:         64
        .size:           8
        .value_kind:     by_value
      - .offset:         72
        .size:           8
        .value_kind:     by_value
      - .address_space:  global
        .offset:         80
        .size:           8
        .value_kind:     global_buffer
      - .offset:         88
        .size:           8
        .value_kind:     by_value
      - .offset:         96
        .size:           4
        .value_kind:     by_value
      - .offset:         100
        .size:           1
        .value_kind:     by_value
    .group_segment_fixed_size: 24576
    .kernarg_segment_align: 8
    .kernarg_segment_size: 104
    .language:       OpenCL C
    .language_version:
      - 2
      - 0
    .max_flat_workgroup_size: 1024
    .name:           _ZN9rocsparseL33gebsrmm_large_blockdim_kernel_extILi32ELi32ELi2E21rocsparse_complex_numIfEEEv20rocsparse_direction_20rocsparse_operation_iiNS_24const_host_device_scalarIT2_EEPKiS9_PKS6_iiSB_lS7_PS6_l21rocsparse_index_base_b
    .private_segment_fixed_size: 0
    .sgpr_count:     56
    .sgpr_spill_count: 0
    .symbol:         _ZN9rocsparseL33gebsrmm_large_blockdim_kernel_extILi32ELi32ELi2E21rocsparse_complex_numIfEEEv20rocsparse_direction_20rocsparse_operation_iiNS_24const_host_device_scalarIT2_EEPKiS9_PKS6_iiSB_lS7_PS6_l21rocsparse_index_base_b.kd
    .uniform_work_group_size: 1
    .uses_dynamic_stack: false
    .vgpr_count:     32
    .vgpr_spill_count: 0
    .wavefront_size: 64
  - .agpr_count:     0
    .args:
      - .offset:         0
        .size:           4
        .value_kind:     by_value
      - .offset:         4
        .size:           4
        .value_kind:     by_value
      - .offset:         8
        .size:           4
        .value_kind:     by_value
      - .offset:         12
        .size:           4
        .value_kind:     by_value
      - .offset:         16
        .size:           16
        .value_kind:     by_value
      - .actual_access:  read_only
        .address_space:  global
        .offset:         32
        .size:           8
        .value_kind:     global_buffer
      - .actual_access:  read_only
        .address_space:  global
        .offset:         40
        .size:           8
        .value_kind:     global_buffer
      - .actual_access:  read_only
        .address_space:  global
        .offset:         48
        .size:           8
        .value_kind:     global_buffer
      - .offset:         56
        .size:           4
        .value_kind:     by_value
      - .offset:         60
        .size:           4
        .value_kind:     by_value
      - .actual_access:  read_only
        .address_space:  global
        .offset:         64
        .size:           8
        .value_kind:     global_buffer
      - .offset:         72
        .size:           8
        .value_kind:     by_value
      - .offset:         80
        .size:           16
        .value_kind:     by_value
      - .address_space:  global
        .offset:         96
        .size:           8
        .value_kind:     global_buffer
      - .offset:         104
        .size:           8
        .value_kind:     by_value
      - .offset:         112
        .size:           4
        .value_kind:     by_value
      - .offset:         116
        .size:           1
        .value_kind:     by_value
    .group_segment_fixed_size: 3072
    .kernarg_segment_align: 8
    .kernarg_segment_size: 120
    .language:       OpenCL C
    .language_version:
      - 2
      - 0
    .max_flat_workgroup_size: 64
    .name:           _ZN9rocsparseL33gebsrmm_large_blockdim_kernel_extILi8ELi8ELi2E21rocsparse_complex_numIdEEEv20rocsparse_direction_20rocsparse_operation_iiNS_24const_host_device_scalarIT2_EEPKiS9_PKS6_iiSB_lS7_PS6_l21rocsparse_index_base_b
    .private_segment_fixed_size: 0
    .sgpr_count:     54
    .sgpr_spill_count: 0
    .symbol:         _ZN9rocsparseL33gebsrmm_large_blockdim_kernel_extILi8ELi8ELi2E21rocsparse_complex_numIdEEEv20rocsparse_direction_20rocsparse_operation_iiNS_24const_host_device_scalarIT2_EEPKiS9_PKS6_iiSB_lS7_PS6_l21rocsparse_index_base_b.kd
    .uniform_work_group_size: 1
    .uses_dynamic_stack: false
    .vgpr_count:     42
    .vgpr_spill_count: 0
    .wavefront_size: 64
  - .agpr_count:     0
    .args:
      - .offset:         0
        .size:           4
        .value_kind:     by_value
      - .offset:         4
        .size:           4
        .value_kind:     by_value
      - .offset:         8
        .size:           4
        .value_kind:     by_value
      - .offset:         12
        .size:           4
        .value_kind:     by_value
      - .offset:         16
        .size:           16
        .value_kind:     by_value
      - .actual_access:  read_only
        .address_space:  global
        .offset:         32
        .size:           8
        .value_kind:     global_buffer
      - .actual_access:  read_only
        .address_space:  global
        .offset:         40
        .size:           8
        .value_kind:     global_buffer
      - .actual_access:  read_only
        .address_space:  global
        .offset:         48
        .size:           8
        .value_kind:     global_buffer
      - .offset:         56
        .size:           4
        .value_kind:     by_value
      - .offset:         60
        .size:           4
        .value_kind:     by_value
      - .actual_access:  read_only
        .address_space:  global
        .offset:         64
        .size:           8
        .value_kind:     global_buffer
      - .offset:         72
        .size:           8
        .value_kind:     by_value
      - .offset:         80
        .size:           16
        .value_kind:     by_value
      - .address_space:  global
        .offset:         96
        .size:           8
        .value_kind:     global_buffer
      - .offset:         104
        .size:           8
        .value_kind:     by_value
      - .offset:         112
        .size:           4
        .value_kind:     by_value
      - .offset:         116
        .size:           1
        .value_kind:     by_value
    .group_segment_fixed_size: 12288
    .kernarg_segment_align: 8
    .kernarg_segment_size: 120
    .language:       OpenCL C
    .language_version:
      - 2
      - 0
    .max_flat_workgroup_size: 256
    .name:           _ZN9rocsparseL33gebsrmm_large_blockdim_kernel_extILi16ELi16ELi2E21rocsparse_complex_numIdEEEv20rocsparse_direction_20rocsparse_operation_iiNS_24const_host_device_scalarIT2_EEPKiS9_PKS6_iiSB_lS7_PS6_l21rocsparse_index_base_b
    .private_segment_fixed_size: 0
    .sgpr_count:     54
    .sgpr_spill_count: 0
    .symbol:         _ZN9rocsparseL33gebsrmm_large_blockdim_kernel_extILi16ELi16ELi2E21rocsparse_complex_numIdEEEv20rocsparse_direction_20rocsparse_operation_iiNS_24const_host_device_scalarIT2_EEPKiS9_PKS6_iiSB_lS7_PS6_l21rocsparse_index_base_b.kd
    .uniform_work_group_size: 1
    .uses_dynamic_stack: false
    .vgpr_count:     42
    .vgpr_spill_count: 0
    .wavefront_size: 64
  - .agpr_count:     0
    .args:
      - .offset:         0
        .size:           4
        .value_kind:     by_value
      - .offset:         4
        .size:           4
        .value_kind:     by_value
      - .offset:         8
        .size:           4
        .value_kind:     by_value
      - .offset:         12
        .size:           4
        .value_kind:     by_value
      - .offset:         16
        .size:           16
        .value_kind:     by_value
      - .actual_access:  read_only
        .address_space:  global
        .offset:         32
        .size:           8
        .value_kind:     global_buffer
      - .actual_access:  read_only
        .address_space:  global
        .offset:         40
        .size:           8
        .value_kind:     global_buffer
      - .actual_access:  read_only
        .address_space:  global
        .offset:         48
        .size:           8
        .value_kind:     global_buffer
      - .offset:         56
        .size:           4
        .value_kind:     by_value
      - .offset:         60
        .size:           4
        .value_kind:     by_value
      - .actual_access:  read_only
        .address_space:  global
        .offset:         64
        .size:           8
        .value_kind:     global_buffer
      - .offset:         72
        .size:           8
        .value_kind:     by_value
      - .offset:         80
        .size:           16
        .value_kind:     by_value
      - .address_space:  global
        .offset:         96
        .size:           8
        .value_kind:     global_buffer
      - .offset:         104
        .size:           8
        .value_kind:     by_value
      - .offset:         112
        .size:           4
        .value_kind:     by_value
      - .offset:         116
        .size:           1
        .value_kind:     by_value
    .group_segment_fixed_size: 49152
    .kernarg_segment_align: 8
    .kernarg_segment_size: 120
    .language:       OpenCL C
    .language_version:
      - 2
      - 0
    .max_flat_workgroup_size: 1024
    .name:           _ZN9rocsparseL33gebsrmm_large_blockdim_kernel_extILi32ELi32ELi2E21rocsparse_complex_numIdEEEv20rocsparse_direction_20rocsparse_operation_iiNS_24const_host_device_scalarIT2_EEPKiS9_PKS6_iiSB_lS7_PS6_l21rocsparse_index_base_b
    .private_segment_fixed_size: 0
    .sgpr_count:     54
    .sgpr_spill_count: 0
    .symbol:         _ZN9rocsparseL33gebsrmm_large_blockdim_kernel_extILi32ELi32ELi2E21rocsparse_complex_numIdEEEv20rocsparse_direction_20rocsparse_operation_iiNS_24const_host_device_scalarIT2_EEPKiS9_PKS6_iiSB_lS7_PS6_l21rocsparse_index_base_b.kd
    .uniform_work_group_size: 1
    .uses_dynamic_stack: false
    .vgpr_count:     42
    .vgpr_spill_count: 0
    .wavefront_size: 64
amdhsa.target:   amdgcn-amd-amdhsa--gfx950
amdhsa.version:
  - 1
  - 2
...

	.end_amdgpu_metadata
